;; amdgpu-corpus repo=ROCm/aiter kind=compiled arch=gfx90a opt=O3
	.text
	.amdgcn_target "amdgcn-amd-amdhsa--gfx90a"
	.amdhsa_code_object_version 6
	.section	.text._ZN7ck_tileL11flush_cacheEv,"axG",@progbits,_ZN7ck_tileL11flush_cacheEv,comdat
	.globl	_ZN7ck_tileL11flush_cacheEv     ; -- Begin function _ZN7ck_tileL11flush_cacheEv
	.p2align	8
	.type	_ZN7ck_tileL11flush_cacheEv,@function
_ZN7ck_tileL11flush_cacheEv:            ; @_ZN7ck_tileL11flush_cacheEv
; %bb.0:
	;;#ASMSTART
	s_icache_inv 
	s_nop 0 
	s_nop 0 
	;; [unrolled: 1-line block ×16, first 2 shown]
	
	;;#ASMEND
	s_endpgm
	.section	.rodata,"a",@progbits
	.p2align	6, 0x0
	.amdhsa_kernel _ZN7ck_tileL11flush_cacheEv
		.amdhsa_group_segment_fixed_size 0
		.amdhsa_private_segment_fixed_size 0
		.amdhsa_kernarg_size 0
		.amdhsa_user_sgpr_count 4
		.amdhsa_user_sgpr_private_segment_buffer 1
		.amdhsa_user_sgpr_dispatch_ptr 0
		.amdhsa_user_sgpr_queue_ptr 0
		.amdhsa_user_sgpr_kernarg_segment_ptr 0
		.amdhsa_user_sgpr_dispatch_id 0
		.amdhsa_user_sgpr_flat_scratch_init 0
		.amdhsa_user_sgpr_kernarg_preload_length 0
		.amdhsa_user_sgpr_kernarg_preload_offset 0
		.amdhsa_user_sgpr_private_segment_size 0
		.amdhsa_uses_dynamic_stack 0
		.amdhsa_system_sgpr_private_segment_wavefront_offset 0
		.amdhsa_system_sgpr_workgroup_id_x 1
		.amdhsa_system_sgpr_workgroup_id_y 0
		.amdhsa_system_sgpr_workgroup_id_z 0
		.amdhsa_system_sgpr_workgroup_info 0
		.amdhsa_system_vgpr_workitem_id 0
		.amdhsa_next_free_vgpr 1
		.amdhsa_next_free_sgpr 0
		.amdhsa_accum_offset 4
		.amdhsa_reserve_vcc 0
		.amdhsa_reserve_flat_scratch 0
		.amdhsa_float_round_mode_32 0
		.amdhsa_float_round_mode_16_64 0
		.amdhsa_float_denorm_mode_32 3
		.amdhsa_float_denorm_mode_16_64 3
		.amdhsa_dx10_clamp 1
		.amdhsa_ieee_mode 1
		.amdhsa_fp16_overflow 0
		.amdhsa_tg_split 0
		.amdhsa_exception_fp_ieee_invalid_op 0
		.amdhsa_exception_fp_denorm_src 0
		.amdhsa_exception_fp_ieee_div_zero 0
		.amdhsa_exception_fp_ieee_overflow 0
		.amdhsa_exception_fp_ieee_underflow 0
		.amdhsa_exception_fp_ieee_inexact 0
		.amdhsa_exception_int_div_zero 0
	.end_amdhsa_kernel
	.section	.text._ZN7ck_tileL11flush_cacheEv,"axG",@progbits,_ZN7ck_tileL11flush_cacheEv,comdat
.Lfunc_end0:
	.size	_ZN7ck_tileL11flush_cacheEv, .Lfunc_end0-_ZN7ck_tileL11flush_cacheEv
                                        ; -- End function
	.section	.AMDGPU.csdata,"",@progbits
; Kernel info:
; codeLenInByte = 140
; NumSgprs: 4
; NumVgprs: 0
; NumAgprs: 0
; TotalNumVgprs: 0
; ScratchSize: 0
; MemoryBound: 0
; FloatMode: 240
; IeeeMode: 1
; LDSByteSize: 0 bytes/workgroup (compile time only)
; SGPRBlocks: 0
; VGPRBlocks: 0
; NumSGPRsForWavesPerEU: 4
; NumVGPRsForWavesPerEU: 1
; AccumOffset: 4
; Occupancy: 8
; WaveLimiterHint : 0
; COMPUTE_PGM_RSRC2:SCRATCH_EN: 0
; COMPUTE_PGM_RSRC2:USER_SGPR: 4
; COMPUTE_PGM_RSRC2:TRAP_HANDLER: 0
; COMPUTE_PGM_RSRC2:TGID_X_EN: 1
; COMPUTE_PGM_RSRC2:TGID_Y_EN: 0
; COMPUTE_PGM_RSRC2:TGID_Z_EN: 0
; COMPUTE_PGM_RSRC2:TIDIG_COMP_CNT: 0
; COMPUTE_PGM_RSRC3_GFX90A:ACCUM_OFFSET: 0
; COMPUTE_PGM_RSRC3_GFX90A:TG_SPLIT: 0
	.section	.text._ZN4vllm27moe_align_block_size_kernelIhEEvPT_PiS3_S3_S3_iim,"axG",@progbits,_ZN4vllm27moe_align_block_size_kernelIhEEvPT_PiS3_S3_S3_iim,comdat
	.protected	_ZN4vllm27moe_align_block_size_kernelIhEEvPT_PiS3_S3_S3_iim ; -- Begin function _ZN4vllm27moe_align_block_size_kernelIhEEvPT_PiS3_S3_S3_iim
	.globl	_ZN4vllm27moe_align_block_size_kernelIhEEvPT_PiS3_S3_S3_iim
	.p2align	8
	.type	_ZN4vllm27moe_align_block_size_kernelIhEEvPT_PiS3_S3_S3_iim,@function
_ZN4vllm27moe_align_block_size_kernelIhEEvPT_PiS3_S3_S3_iim: ; @_ZN4vllm27moe_align_block_size_kernelIhEEvPT_PiS3_S3_S3_iim
; %bb.0:
	s_load_dword s0, s[4:5], 0x44
	s_load_dwordx2 s[2:3], s[4:5], 0x30
	s_mov_b32 s6, 0
	s_waitcnt lgkmcnt(0)
	s_and_b32 s8, s0, 0xffff
	s_add_u32 s0, s2, s8
	s_addc_u32 s1, s3, 0
	s_add_u32 s9, s0, -1
	s_addc_u32 s7, s1, -1
	s_cmp_lg_u64 s[6:7], 0
	s_mov_b64 s[0:1], -1
	s_cbranch_scc0 .LBB1_25
; %bb.1:
	v_cvt_f32_u32_e32 v1, s8
	v_mov_b32_e32 v2, 0x4f800000
	s_sub_u32 s6, 0, s8
	s_subb_u32 s10, 0, 0
	v_mac_f32_e32 v1, 0, v2
	v_rcp_f32_e32 v1, v1
	v_mul_f32_e32 v1, 0x5f7ffffc, v1
	v_mul_f32_e32 v2, 0x2f800000, v1
	v_trunc_f32_e32 v2, v2
	v_madmk_f32 v1, v2, 0xcf800000, v1
	v_cvt_u32_f32_e32 v2, v2
	v_cvt_u32_f32_e32 v1, v1
	v_readfirstlane_b32 s11, v2
	v_readfirstlane_b32 s12, v1
	s_mul_i32 s13, s6, s11
	s_mul_hi_u32 s15, s6, s12
	s_mul_i32 s14, s10, s12
	s_add_i32 s13, s15, s13
	s_add_i32 s13, s13, s14
	s_mul_i32 s16, s6, s12
	s_mul_hi_u32 s14, s12, s13
	s_mul_i32 s15, s12, s13
	s_mul_hi_u32 s12, s12, s16
	s_add_u32 s12, s12, s15
	s_addc_u32 s14, 0, s14
	s_mul_hi_u32 s17, s11, s16
	s_mul_i32 s16, s11, s16
	s_add_u32 s12, s12, s16
	s_mul_hi_u32 s15, s11, s13
	s_addc_u32 s12, s14, s17
	s_addc_u32 s14, s15, 0
	s_mul_i32 s13, s11, s13
	s_add_u32 s12, s12, s13
	s_addc_u32 s13, 0, s14
	v_add_co_u32_e32 v1, vcc, s12, v1
	s_cmp_lg_u64 vcc, 0
	s_addc_u32 s11, s11, s13
	v_readfirstlane_b32 s13, v1
	s_mul_i32 s12, s6, s11
	s_mul_hi_u32 s14, s6, s13
	s_add_i32 s12, s14, s12
	s_mul_i32 s10, s10, s13
	s_add_i32 s12, s12, s10
	s_mul_i32 s6, s6, s13
	s_mul_hi_u32 s14, s11, s6
	s_mul_i32 s15, s11, s6
	s_mul_i32 s17, s13, s12
	s_mul_hi_u32 s6, s13, s6
	s_mul_hi_u32 s16, s13, s12
	s_add_u32 s6, s6, s17
	s_addc_u32 s13, 0, s16
	s_add_u32 s6, s6, s15
	s_mul_hi_u32 s10, s11, s12
	s_addc_u32 s6, s13, s14
	s_addc_u32 s10, s10, 0
	s_mul_i32 s12, s11, s12
	s_add_u32 s6, s6, s12
	s_addc_u32 s10, 0, s10
	v_add_co_u32_e32 v1, vcc, s6, v1
	s_cmp_lg_u64 vcc, 0
	s_addc_u32 s6, s11, s10
	v_readfirstlane_b32 s12, v1
	s_mul_i32 s11, s9, s6
	s_mul_hi_u32 s13, s9, s12
	s_mul_hi_u32 s10, s9, s6
	s_add_u32 s11, s13, s11
	s_addc_u32 s10, 0, s10
	s_mul_hi_u32 s14, s7, s12
	s_mul_i32 s12, s7, s12
	s_add_u32 s11, s11, s12
	s_mul_hi_u32 s13, s7, s6
	s_addc_u32 s10, s10, s14
	s_addc_u32 s11, s13, 0
	s_mul_i32 s6, s7, s6
	s_add_u32 s6, s10, s6
	s_addc_u32 s10, 0, s11
	s_add_u32 s11, s6, 1
	s_addc_u32 s12, s10, 0
	s_add_u32 s13, s6, 2
	s_mul_i32 s15, s8, s10
	s_mul_hi_u32 s16, s8, s6
	s_addc_u32 s14, s10, 0
	s_add_i32 s16, s16, s15
	s_mul_i32 s15, s8, s6
	v_mov_b32_e32 v1, s15
	v_sub_co_u32_e32 v1, vcc, s9, v1
	s_cmp_lg_u64 vcc, 0
	s_subb_u32 s7, s7, s16
	v_subrev_co_u32_e32 v2, vcc, s8, v1
	s_cmp_lg_u64 vcc, 0
	s_subb_u32 s15, s7, 0
	v_cmp_le_u32_e32 vcc, s8, v2
	s_cmp_eq_u32 s15, 0
	v_cndmask_b32_e64 v2, 0, -1, vcc
	s_cselect_b64 vcc, -1, 0
	v_cndmask_b32_e32 v2, -1, v2, vcc
	v_mov_b32_e32 v3, s11
	v_mov_b32_e32 v4, s13
	v_cmp_ne_u32_e32 vcc, 0, v2
	v_cndmask_b32_e32 v2, v3, v4, vcc
	v_mov_b32_e32 v3, s12
	v_mov_b32_e32 v4, s14
	v_cndmask_b32_e32 v3, v3, v4, vcc
	v_cmp_le_u32_e32 vcc, s8, v1
	s_cmp_eq_u32 s7, 0
	v_cndmask_b32_e64 v1, 0, -1, vcc
	s_cselect_b64 vcc, -1, 0
	v_cndmask_b32_e32 v1, -1, v1, vcc
	v_mov_b32_e32 v4, s10
	v_cmp_ne_u32_e32 vcc, 0, v1
	v_mov_b32_e32 v1, s6
	v_cndmask_b32_e32 v5, v4, v3, vcc
	v_cndmask_b32_e32 v4, v1, v2, vcc
	s_cbranch_execnz .LBB1_3
.LBB1_2:
	v_cvt_f32_u32_e32 v1, s8
	s_sub_i32 s0, 0, s8
	s_mov_b32 s1, 0
	v_rcp_iflag_f32_e32 v1, v1
	v_mul_f32_e32 v1, 0x4f7ffffe, v1
	v_cvt_u32_f32_e32 v1, v1
	v_readfirstlane_b32 s6, v1
	s_mul_i32 s0, s0, s6
	s_mul_hi_u32 s0, s6, s0
	s_add_i32 s6, s6, s0
	s_mul_hi_u32 s0, s9, s6
	s_mul_i32 s7, s0, s8
	s_sub_i32 s7, s9, s7
	s_add_i32 s6, s0, 1
	s_sub_i32 s9, s7, s8
	s_cmp_ge_u32 s7, s8
	s_cselect_b32 s0, s6, s0
	s_cselect_b32 s7, s9, s7
	s_add_i32 s6, s0, 1
	s_cmp_ge_u32 s7, s8
	s_cselect_b32 s0, s6, s0
	v_pk_mov_b32 v[4:5], s[0:1], s[0:1] op_sel:[0,1]
.LBB1_3:
	s_load_dwordx2 s[14:15], s[4:5], 0x28
	s_load_dwordx2 s[12:13], s[4:5], 0x0
	s_waitcnt lgkmcnt(0)
	v_cmp_gt_u32_e64 s[0:1], s14, v0
	s_and_saveexec_b64 s[6:7], s[0:1]
	s_cbranch_execz .LBB1_5
; %bb.4:
	v_lshl_add_u32 v1, v0, 2, 0
	v_mov_b32_e32 v2, 0
	ds_write_b32 v1, v2
.LBB1_5:
	s_or_b64 exec, exec, s[6:7]
	v_mad_u64_u32 v[6:7], s[6:7], v4, v0, v[4:5]
	v_mul_lo_u32 v2, v4, v0
	v_mov_b32_e32 v4, v7
	v_mad_u64_u32 v[4:5], s[6:7], v5, v0, v[4:5]
	v_mov_b32_e32 v7, v4
	v_mov_b32_e32 v1, s3
	v_cmp_lt_u64_e32 vcc, s[2:3], v[6:7]
	v_cndmask_b32_e32 v5, v4, v1, vcc
	v_mov_b32_e32 v1, s2
	v_cndmask_b32_e32 v4, v6, v1, vcc
	v_ashrrev_i32_e32 v3, 31, v2
	v_cmp_lt_u64_e32 vcc, v[2:3], v[4:5]
	s_waitcnt lgkmcnt(0)
	s_barrier
	s_and_saveexec_b64 s[6:7], vcc
	s_cbranch_execz .LBB1_8
; %bb.6:
	s_mov_b64 s[8:9], 0
	v_mov_b32_e32 v1, s13
	v_mov_b32_e32 v8, 1
	v_pk_mov_b32 v[6:7], v[2:3], v[2:3] op_sel:[0,1]
	v_mov_b32_e32 v9, v2
.LBB1_7:                                ; =>This Inner Loop Header: Depth=1
	v_add_co_u32_e64 v6, s[2:3], s12, v6
	v_addc_co_u32_e64 v7, s[2:3], v1, v7, s[2:3]
	global_load_ubyte v7, v[6:7], off
	v_add_u32_e32 v6, 1, v9
	v_mov_b32_e32 v9, v6
	s_waitcnt vmcnt(0)
	v_lshl_add_u32 v7, v7, 2, 0
	ds_add_u32 v7, v8
	v_ashrrev_i32_e32 v7, 31, v6
	v_cmp_le_u64_e64 s[2:3], v[4:5], v[6:7]
	s_or_b64 s[8:9], s[2:3], s[8:9]
	s_andn2_b64 exec, exec, s[8:9]
	s_cbranch_execnz .LBB1_7
.LBB1_8:
	s_or_b64 exec, exec, s[6:7]
	s_load_dwordx8 s[4:11], s[4:5], 0x8
	s_lshl_b32 s20, s14, 2
	s_add_i32 s19, s20, 0
	s_add_i32 s18, s19, s20
	v_cmp_eq_u32_e64 s[2:3], 0, v0
	s_waitcnt lgkmcnt(0)
	s_barrier
	s_and_saveexec_b64 s[16:17], s[2:3]
	s_cbranch_execz .LBB1_17
; %bb.9:
	v_mov_b32_e32 v1, 0
	v_mov_b32_e32 v6, s19
	s_cmp_lt_i32 s14, 1
	ds_write_b32 v6, v1
	s_cbranch_scc1 .LBB1_16
; %bb.10:
	s_add_i32 s21, s15, -1
	s_mov_b32 s2, 0
	s_cmp_lt_u32 s14, 8
	s_mov_b32 s27, 0
	s_cbranch_scc1 .LBB1_13
; %bb.11:
	s_abs_i32 s3, s15
	v_cvt_f32_u32_e32 v6, s3
	s_sub_i32 s25, 0, s3
	s_and_b32 s2, s14, 0x7ffffff8
	s_ashr_i32 s22, s15, 31
	v_rcp_iflag_f32_e32 v6, v6
	s_mov_b32 s23, 0
	s_lshl_b32 s24, s14, 3
	v_mul_f32_e32 v6, 0x4f7ffffe, v6
	v_cvt_u32_f32_e32 v6, v6
	v_readfirstlane_b32 s26, v6
	s_mul_i32 s25, s25, s26
	s_mul_hi_u32 s25, s26, s25
	s_add_i32 s25, s26, s25
	s_mov_b32 s26, 0
.LBB1_12:                               ; =>This Inner Loop Header: Depth=1
	v_mov_b32_e32 v6, s23
	ds_read_b32 v7, v6
	s_mul_i32 s28, s27, s15
	v_mov_b32_e32 v9, s28
	s_waitcnt lgkmcnt(0)
	v_readfirstlane_b32 s28, v7
	s_add_i32 s28, s21, s28
	s_ashr_i32 s29, s28, 31
	s_abs_i32 s28, s28
	s_mul_hi_u32 s30, s28, s25
	s_mul_i32 s31, s30, s3
	s_sub_i32 s28, s28, s31
	s_xor_b32 s29, s29, s22
	s_add_i32 s33, s30, 1
	s_sub_i32 s31, s28, s3
	s_cmp_ge_u32 s28, s3
	s_cselect_b32 s30, s33, s30
	s_cselect_b32 s28, s31, s28
	s_add_i32 s31, s30, 1
	s_cmp_ge_u32 s28, s3
	s_cselect_b32 s28, s31, s30
	s_xor_b32 s28, s28, s29
	s_sub_i32 s28, s28, s29
	s_add_i32 s30, s23, s20
	s_add_i32 s27, s27, s28
	;; [unrolled: 1-line block ×3, first 2 shown]
	v_mov_b32_e32 v7, s30
	v_mov_b32_e32 v10, s27
	;; [unrolled: 1-line block ×3, first 2 shown]
	ds_write_b32 v7, v10 offset:4
	ds_write_b32 v8, v9 offset:4
	ds_read_b32 v10, v6 offset:4
	s_mul_i32 s28, s27, s15
	v_mov_b32_e32 v9, s28
	s_waitcnt lgkmcnt(0)
	v_readfirstlane_b32 s28, v10
	s_add_i32 s28, s21, s28
	s_ashr_i32 s29, s28, 31
	s_abs_i32 s28, s28
	s_mul_hi_u32 s30, s28, s25
	s_mul_i32 s31, s30, s3
	s_sub_i32 s28, s28, s31
	s_xor_b32 s29, s29, s22
	s_add_i32 s33, s30, 1
	s_sub_i32 s31, s28, s3
	s_cmp_ge_u32 s28, s3
	s_cselect_b32 s30, s33, s30
	s_cselect_b32 s28, s31, s28
	s_add_i32 s31, s30, 1
	s_cmp_ge_u32 s28, s3
	s_cselect_b32 s28, s31, s30
	s_xor_b32 s28, s28, s29
	s_sub_i32 s28, s28, s29
	s_add_i32 s27, s27, s28
	v_mov_b32_e32 v10, s27
	ds_write_b32 v7, v10 offset:8
	ds_write_b32 v8, v9 offset:8
	ds_read_b32 v10, v6 offset:8
	s_mul_i32 s28, s27, s15
	v_mov_b32_e32 v9, s28
	s_waitcnt lgkmcnt(0)
	v_readfirstlane_b32 s28, v10
	s_add_i32 s28, s21, s28
	s_ashr_i32 s29, s28, 31
	s_abs_i32 s28, s28
	s_mul_hi_u32 s30, s28, s25
	s_mul_i32 s31, s30, s3
	s_sub_i32 s28, s28, s31
	s_xor_b32 s29, s29, s22
	s_add_i32 s33, s30, 1
	s_sub_i32 s31, s28, s3
	s_cmp_ge_u32 s28, s3
	s_cselect_b32 s30, s33, s30
	s_cselect_b32 s28, s31, s28
	s_add_i32 s31, s30, 1
	s_cmp_ge_u32 s28, s3
	s_cselect_b32 s28, s31, s30
	s_xor_b32 s28, s28, s29
	s_sub_i32 s28, s28, s29
	s_add_i32 s27, s27, s28
	v_mov_b32_e32 v10, s27
	;; [unrolled: 26-line block ×6, first 2 shown]
	ds_write_b32 v7, v10 offset:28
	ds_write_b32 v8, v9 offset:28
	ds_read_b32 v6, v6 offset:28
	s_mul_i32 s28, s27, s15
	v_mov_b32_e32 v9, s28
	s_waitcnt lgkmcnt(0)
	v_readfirstlane_b32 s28, v6
	s_add_i32 s28, s21, s28
	s_ashr_i32 s29, s28, 31
	s_abs_i32 s28, s28
	s_mul_hi_u32 s30, s28, s25
	s_mul_i32 s31, s30, s3
	s_sub_i32 s28, s28, s31
	s_xor_b32 s29, s29, s22
	s_add_i32 s33, s30, 1
	s_sub_i32 s31, s28, s3
	s_cmp_ge_u32 s28, s3
	s_cselect_b32 s30, s33, s30
	s_cselect_b32 s28, s31, s28
	s_add_i32 s31, s30, 1
	s_cmp_ge_u32 s28, s3
	s_cselect_b32 s28, s31, s30
	s_xor_b32 s28, s28, s29
	s_sub_i32 s28, s28, s29
	s_add_i32 s26, s26, 8
	s_add_i32 s23, s23, 32
	;; [unrolled: 1-line block ×3, first 2 shown]
	v_mov_b32_e32 v6, s27
	s_cmp_eq_u32 s2, s26
	ds_write_b32 v7, v6 offset:32
	ds_write_b32 v8, v9 offset:32
	s_cbranch_scc0 .LBB1_12
.LBB1_13:
	s_and_b32 s22, s14, 7
	s_cmp_eq_u32 s22, 0
	s_cbranch_scc1 .LBB1_16
; %bb.14:
	s_abs_i32 s23, s15
	v_cvt_f32_u32_e32 v6, s23
	s_sub_i32 s3, 0, s23
	s_lshl_b32 s2, s2, 2
	s_ashr_i32 s24, s15, 31
	v_rcp_iflag_f32_e32 v6, v6
	s_lshl_b32 s14, s14, 3
	s_add_i32 s25, s2, 0
	v_mul_f32_e32 v6, 0x4f7ffffe, v6
	v_cvt_u32_f32_e32 v6, v6
	v_mul_lo_u32 v7, s3, v6
	v_mul_hi_u32 v7, v6, v7
	v_add_u32_e32 v6, v6, v7
	v_mov_b32_e32 v7, s27
.LBB1_15:                               ; =>This Inner Loop Header: Depth=1
	v_mov_b32_e32 v8, s25
	ds_read_b32 v8, v8
	s_add_i32 s2, s25, s20
	s_add_i32 s3, s25, s14
	v_mov_b32_e32 v10, s2
	v_mov_b32_e32 v11, s3
	s_waitcnt lgkmcnt(0)
	v_add_u32_e32 v8, s21, v8
	v_sub_u32_e32 v13, 0, v8
	v_ashrrev_i32_e32 v12, 31, v8
	v_max_i32_e32 v8, v8, v13
	v_mul_hi_u32 v13, v8, v6
	v_mul_lo_u32 v14, v13, s23
	v_sub_u32_e32 v8, v8, v14
	v_add_u32_e32 v15, 1, v13
	v_subrev_u32_e32 v14, s23, v8
	v_cmp_le_u32_e64 s[2:3], s23, v8
	v_cndmask_b32_e64 v13, v13, v15, s[2:3]
	v_cndmask_b32_e64 v8, v8, v14, s[2:3]
	v_add_u32_e32 v14, 1, v13
	v_cmp_le_u32_e64 s[2:3], s23, v8
	v_xor_b32_e32 v12, s24, v12
	v_cndmask_b32_e64 v8, v13, v14, s[2:3]
	v_xor_b32_e32 v8, v8, v12
	s_add_i32 s25, s25, 4
	s_add_i32 s22, s22, -1
	v_sub_u32_e32 v8, v8, v12
	v_mul_lo_u32 v9, v7, s15
	s_cmp_lg_u32 s22, 0
	v_add_u32_e32 v7, v7, v8
	ds_write_b32 v10, v7 offset:4
	ds_write_b32 v11, v9 offset:4
	s_cbranch_scc1 .LBB1_15
.LBB1_16:
	v_mov_b32_e32 v6, s18
	ds_read_b32 v6, v6
	s_waitcnt lgkmcnt(0)
	v_mul_lo_u32 v6, v6, s15
	global_store_dword v1, v6, s[10:11]
.LBB1_17:
	s_or_b64 exec, exec, s[16:17]
	s_barrier
	s_and_saveexec_b64 s[10:11], s[0:1]
	s_cbranch_execz .LBB1_21
; %bb.18:
	v_lshl_add_u32 v1, v0, 2, s19
	ds_read2_b32 v[6:7], v1 offset1:1
	s_waitcnt lgkmcnt(0)
	v_cmp_lt_i32_e64 s[0:1], v6, v7
	s_and_b64 exec, exec, s[0:1]
	s_cbranch_execz .LBB1_21
; %bb.19:
	v_lshl_add_u32 v1, v0, 2, 0
	v_ashrrev_i32_e32 v9, 31, v6
	v_mov_b32_e32 v8, v6
	ds_read_b32 v1, v1
	v_lshlrev_b64 v[10:11], 2, v[8:9]
	v_mov_b32_e32 v9, s7
	v_add_co_u32_e64 v8, s[0:1], s6, v10
	v_addc_co_u32_e64 v9, s[0:1], v9, v11, s[0:1]
	v_mov_b32_e32 v12, s9
	v_add_co_u32_e64 v10, s[0:1], s8, v10
	v_addc_co_u32_e64 v11, s[0:1], v12, v11, s[0:1]
	s_mov_b64 s[6:7], 0
.LBB1_20:                               ; =>This Inner Loop Header: Depth=1
	global_store_dword v[8:9], v0, off
	s_waitcnt lgkmcnt(0)
	global_store_dword v[10:11], v1, off
	v_add_co_u32_e64 v8, s[0:1], 4, v8
	v_add_u32_e32 v6, 1, v6
	v_addc_co_u32_e64 v9, s[0:1], 0, v9, s[0:1]
	v_add_co_u32_e64 v10, s[0:1], 4, v10
	v_cmp_ge_i32_e64 s[2:3], v6, v7
	v_subrev_u32_e32 v1, s15, v1
	s_or_b64 s[6:7], s[2:3], s[6:7]
	v_addc_co_u32_e64 v11, s[0:1], 0, v11, s[0:1]
	s_andn2_b64 exec, exec, s[6:7]
	s_cbranch_execnz .LBB1_20
.LBB1_21:
	s_or_b64 exec, exec, s[10:11]
	s_barrier
	s_and_saveexec_b64 s[0:1], vcc
	s_cbranch_execz .LBB1_24
; %bb.22:
	s_add_i32 s18, s18, 4
	s_mov_b64 s[0:1], 0
	v_mov_b32_e32 v0, s13
	v_mov_b32_e32 v1, 1
	;; [unrolled: 1-line block ×3, first 2 shown]
.LBB1_23:                               ; =>This Inner Loop Header: Depth=1
	v_add_co_u32_e32 v8, vcc, s12, v2
	v_addc_co_u32_e32 v9, vcc, v0, v3, vcc
	global_load_ubyte v3, v[8:9], off
	s_waitcnt vmcnt(0)
	v_lshl_add_u32 v3, v3, 2, s18
	ds_add_rtn_u32 v8, v3, v1
	s_waitcnt lgkmcnt(0)
	v_ashrrev_i32_e32 v9, 31, v8
	v_lshlrev_b64 v[8:9], 2, v[8:9]
	v_add_co_u32_e32 v8, vcc, s4, v8
	v_addc_co_u32_e32 v9, vcc, v6, v9, vcc
	global_store_dword v[8:9], v2, off
	v_add_u32_e32 v2, 1, v2
	v_ashrrev_i32_e32 v3, 31, v2
	v_cmp_le_u64_e32 vcc, v[4:5], v[2:3]
	s_or_b64 s[0:1], vcc, s[0:1]
	s_andn2_b64 exec, exec, s[0:1]
	s_cbranch_execnz .LBB1_23
.LBB1_24:
	s_endpgm
.LBB1_25:
                                        ; implicit-def: $vgpr4_vgpr5
	s_andn2_b64 vcc, exec, s[0:1]
	s_cbranch_vccz .LBB1_2
	s_branch .LBB1_3
	.section	.rodata,"a",@progbits
	.p2align	6, 0x0
	.amdhsa_kernel _ZN4vllm27moe_align_block_size_kernelIhEEvPT_PiS3_S3_S3_iim
		.amdhsa_group_segment_fixed_size 0
		.amdhsa_private_segment_fixed_size 0
		.amdhsa_kernarg_size 312
		.amdhsa_user_sgpr_count 6
		.amdhsa_user_sgpr_private_segment_buffer 1
		.amdhsa_user_sgpr_dispatch_ptr 0
		.amdhsa_user_sgpr_queue_ptr 0
		.amdhsa_user_sgpr_kernarg_segment_ptr 1
		.amdhsa_user_sgpr_dispatch_id 0
		.amdhsa_user_sgpr_flat_scratch_init 0
		.amdhsa_user_sgpr_kernarg_preload_length 0
		.amdhsa_user_sgpr_kernarg_preload_offset 0
		.amdhsa_user_sgpr_private_segment_size 0
		.amdhsa_uses_dynamic_stack 0
		.amdhsa_system_sgpr_private_segment_wavefront_offset 0
		.amdhsa_system_sgpr_workgroup_id_x 1
		.amdhsa_system_sgpr_workgroup_id_y 0
		.amdhsa_system_sgpr_workgroup_id_z 0
		.amdhsa_system_sgpr_workgroup_info 0
		.amdhsa_system_vgpr_workitem_id 0
		.amdhsa_next_free_vgpr 16
		.amdhsa_next_free_sgpr 34
		.amdhsa_accum_offset 16
		.amdhsa_reserve_vcc 1
		.amdhsa_reserve_flat_scratch 0
		.amdhsa_float_round_mode_32 0
		.amdhsa_float_round_mode_16_64 0
		.amdhsa_float_denorm_mode_32 3
		.amdhsa_float_denorm_mode_16_64 3
		.amdhsa_dx10_clamp 1
		.amdhsa_ieee_mode 1
		.amdhsa_fp16_overflow 0
		.amdhsa_tg_split 0
		.amdhsa_exception_fp_ieee_invalid_op 0
		.amdhsa_exception_fp_denorm_src 0
		.amdhsa_exception_fp_ieee_div_zero 0
		.amdhsa_exception_fp_ieee_overflow 0
		.amdhsa_exception_fp_ieee_underflow 0
		.amdhsa_exception_fp_ieee_inexact 0
		.amdhsa_exception_int_div_zero 0
	.end_amdhsa_kernel
	.section	.text._ZN4vllm27moe_align_block_size_kernelIhEEvPT_PiS3_S3_S3_iim,"axG",@progbits,_ZN4vllm27moe_align_block_size_kernelIhEEvPT_PiS3_S3_S3_iim,comdat
.Lfunc_end1:
	.size	_ZN4vllm27moe_align_block_size_kernelIhEEvPT_PiS3_S3_S3_iim, .Lfunc_end1-_ZN4vllm27moe_align_block_size_kernelIhEEvPT_PiS3_S3_S3_iim
                                        ; -- End function
	.section	.AMDGPU.csdata,"",@progbits
; Kernel info:
; codeLenInByte = 2640
; NumSgprs: 38
; NumVgprs: 16
; NumAgprs: 0
; TotalNumVgprs: 16
; ScratchSize: 0
; MemoryBound: 0
; FloatMode: 240
; IeeeMode: 1
; LDSByteSize: 0 bytes/workgroup (compile time only)
; SGPRBlocks: 4
; VGPRBlocks: 1
; NumSGPRsForWavesPerEU: 38
; NumVGPRsForWavesPerEU: 16
; AccumOffset: 16
; Occupancy: 8
; WaveLimiterHint : 0
; COMPUTE_PGM_RSRC2:SCRATCH_EN: 0
; COMPUTE_PGM_RSRC2:USER_SGPR: 6
; COMPUTE_PGM_RSRC2:TRAP_HANDLER: 0
; COMPUTE_PGM_RSRC2:TGID_X_EN: 1
; COMPUTE_PGM_RSRC2:TGID_Y_EN: 0
; COMPUTE_PGM_RSRC2:TGID_Z_EN: 0
; COMPUTE_PGM_RSRC2:TIDIG_COMP_CNT: 0
; COMPUTE_PGM_RSRC3_GFX90A:ACCUM_OFFSET: 3
; COMPUTE_PGM_RSRC3_GFX90A:TG_SPLIT: 0
	.section	.text._ZN4vllm27moe_align_block_size_kernelIaEEvPT_PiS3_S3_S3_iim,"axG",@progbits,_ZN4vllm27moe_align_block_size_kernelIaEEvPT_PiS3_S3_S3_iim,comdat
	.protected	_ZN4vllm27moe_align_block_size_kernelIaEEvPT_PiS3_S3_S3_iim ; -- Begin function _ZN4vllm27moe_align_block_size_kernelIaEEvPT_PiS3_S3_S3_iim
	.globl	_ZN4vllm27moe_align_block_size_kernelIaEEvPT_PiS3_S3_S3_iim
	.p2align	8
	.type	_ZN4vllm27moe_align_block_size_kernelIaEEvPT_PiS3_S3_S3_iim,@function
_ZN4vllm27moe_align_block_size_kernelIaEEvPT_PiS3_S3_S3_iim: ; @_ZN4vllm27moe_align_block_size_kernelIaEEvPT_PiS3_S3_S3_iim
; %bb.0:
	s_load_dword s0, s[4:5], 0x44
	s_load_dwordx2 s[2:3], s[4:5], 0x30
	s_mov_b32 s6, 0
	s_waitcnt lgkmcnt(0)
	s_and_b32 s8, s0, 0xffff
	s_add_u32 s0, s2, s8
	s_addc_u32 s1, s3, 0
	s_add_u32 s9, s0, -1
	s_addc_u32 s7, s1, -1
	s_cmp_lg_u64 s[6:7], 0
	s_mov_b64 s[0:1], -1
	s_cbranch_scc0 .LBB2_25
; %bb.1:
	v_cvt_f32_u32_e32 v1, s8
	v_mov_b32_e32 v2, 0x4f800000
	s_sub_u32 s6, 0, s8
	s_subb_u32 s10, 0, 0
	v_mac_f32_e32 v1, 0, v2
	v_rcp_f32_e32 v1, v1
	v_mul_f32_e32 v1, 0x5f7ffffc, v1
	v_mul_f32_e32 v2, 0x2f800000, v1
	v_trunc_f32_e32 v2, v2
	v_madmk_f32 v1, v2, 0xcf800000, v1
	v_cvt_u32_f32_e32 v2, v2
	v_cvt_u32_f32_e32 v1, v1
	v_readfirstlane_b32 s11, v2
	v_readfirstlane_b32 s12, v1
	s_mul_i32 s13, s6, s11
	s_mul_hi_u32 s15, s6, s12
	s_mul_i32 s14, s10, s12
	s_add_i32 s13, s15, s13
	s_add_i32 s13, s13, s14
	s_mul_i32 s16, s6, s12
	s_mul_hi_u32 s14, s12, s13
	s_mul_i32 s15, s12, s13
	s_mul_hi_u32 s12, s12, s16
	s_add_u32 s12, s12, s15
	s_addc_u32 s14, 0, s14
	s_mul_hi_u32 s17, s11, s16
	s_mul_i32 s16, s11, s16
	s_add_u32 s12, s12, s16
	s_mul_hi_u32 s15, s11, s13
	s_addc_u32 s12, s14, s17
	s_addc_u32 s14, s15, 0
	s_mul_i32 s13, s11, s13
	s_add_u32 s12, s12, s13
	s_addc_u32 s13, 0, s14
	v_add_co_u32_e32 v1, vcc, s12, v1
	s_cmp_lg_u64 vcc, 0
	s_addc_u32 s11, s11, s13
	v_readfirstlane_b32 s13, v1
	s_mul_i32 s12, s6, s11
	s_mul_hi_u32 s14, s6, s13
	s_add_i32 s12, s14, s12
	s_mul_i32 s10, s10, s13
	s_add_i32 s12, s12, s10
	s_mul_i32 s6, s6, s13
	s_mul_hi_u32 s14, s11, s6
	s_mul_i32 s15, s11, s6
	s_mul_i32 s17, s13, s12
	s_mul_hi_u32 s6, s13, s6
	s_mul_hi_u32 s16, s13, s12
	s_add_u32 s6, s6, s17
	s_addc_u32 s13, 0, s16
	s_add_u32 s6, s6, s15
	s_mul_hi_u32 s10, s11, s12
	s_addc_u32 s6, s13, s14
	s_addc_u32 s10, s10, 0
	s_mul_i32 s12, s11, s12
	s_add_u32 s6, s6, s12
	s_addc_u32 s10, 0, s10
	v_add_co_u32_e32 v1, vcc, s6, v1
	s_cmp_lg_u64 vcc, 0
	s_addc_u32 s6, s11, s10
	v_readfirstlane_b32 s12, v1
	s_mul_i32 s11, s9, s6
	s_mul_hi_u32 s13, s9, s12
	s_mul_hi_u32 s10, s9, s6
	s_add_u32 s11, s13, s11
	s_addc_u32 s10, 0, s10
	s_mul_hi_u32 s14, s7, s12
	s_mul_i32 s12, s7, s12
	s_add_u32 s11, s11, s12
	s_mul_hi_u32 s13, s7, s6
	s_addc_u32 s10, s10, s14
	s_addc_u32 s11, s13, 0
	s_mul_i32 s6, s7, s6
	s_add_u32 s6, s10, s6
	s_addc_u32 s10, 0, s11
	s_add_u32 s11, s6, 1
	s_addc_u32 s12, s10, 0
	s_add_u32 s13, s6, 2
	s_mul_i32 s15, s8, s10
	s_mul_hi_u32 s16, s8, s6
	s_addc_u32 s14, s10, 0
	s_add_i32 s16, s16, s15
	s_mul_i32 s15, s8, s6
	v_mov_b32_e32 v1, s15
	v_sub_co_u32_e32 v1, vcc, s9, v1
	s_cmp_lg_u64 vcc, 0
	s_subb_u32 s7, s7, s16
	v_subrev_co_u32_e32 v2, vcc, s8, v1
	s_cmp_lg_u64 vcc, 0
	s_subb_u32 s15, s7, 0
	v_cmp_le_u32_e32 vcc, s8, v2
	s_cmp_eq_u32 s15, 0
	v_cndmask_b32_e64 v2, 0, -1, vcc
	s_cselect_b64 vcc, -1, 0
	v_cndmask_b32_e32 v2, -1, v2, vcc
	v_mov_b32_e32 v3, s11
	v_mov_b32_e32 v4, s13
	v_cmp_ne_u32_e32 vcc, 0, v2
	v_cndmask_b32_e32 v2, v3, v4, vcc
	v_mov_b32_e32 v3, s12
	v_mov_b32_e32 v4, s14
	v_cndmask_b32_e32 v3, v3, v4, vcc
	v_cmp_le_u32_e32 vcc, s8, v1
	s_cmp_eq_u32 s7, 0
	v_cndmask_b32_e64 v1, 0, -1, vcc
	s_cselect_b64 vcc, -1, 0
	v_cndmask_b32_e32 v1, -1, v1, vcc
	v_mov_b32_e32 v4, s10
	v_cmp_ne_u32_e32 vcc, 0, v1
	v_mov_b32_e32 v1, s6
	v_cndmask_b32_e32 v5, v4, v3, vcc
	v_cndmask_b32_e32 v4, v1, v2, vcc
	s_cbranch_execnz .LBB2_3
.LBB2_2:
	v_cvt_f32_u32_e32 v1, s8
	s_sub_i32 s0, 0, s8
	s_mov_b32 s1, 0
	v_rcp_iflag_f32_e32 v1, v1
	v_mul_f32_e32 v1, 0x4f7ffffe, v1
	v_cvt_u32_f32_e32 v1, v1
	v_readfirstlane_b32 s6, v1
	s_mul_i32 s0, s0, s6
	s_mul_hi_u32 s0, s6, s0
	s_add_i32 s6, s6, s0
	s_mul_hi_u32 s0, s9, s6
	s_mul_i32 s7, s0, s8
	s_sub_i32 s7, s9, s7
	s_add_i32 s6, s0, 1
	s_sub_i32 s9, s7, s8
	s_cmp_ge_u32 s7, s8
	s_cselect_b32 s0, s6, s0
	s_cselect_b32 s7, s9, s7
	s_add_i32 s6, s0, 1
	s_cmp_ge_u32 s7, s8
	s_cselect_b32 s0, s6, s0
	v_pk_mov_b32 v[4:5], s[0:1], s[0:1] op_sel:[0,1]
.LBB2_3:
	s_load_dwordx2 s[14:15], s[4:5], 0x28
	s_load_dwordx2 s[12:13], s[4:5], 0x0
	s_waitcnt lgkmcnt(0)
	v_cmp_gt_u32_e64 s[0:1], s14, v0
	s_and_saveexec_b64 s[6:7], s[0:1]
	s_cbranch_execz .LBB2_5
; %bb.4:
	v_lshl_add_u32 v1, v0, 2, 0
	v_mov_b32_e32 v2, 0
	ds_write_b32 v1, v2
.LBB2_5:
	s_or_b64 exec, exec, s[6:7]
	v_mad_u64_u32 v[6:7], s[6:7], v4, v0, v[4:5]
	v_mul_lo_u32 v2, v4, v0
	v_mov_b32_e32 v4, v7
	v_mad_u64_u32 v[4:5], s[6:7], v5, v0, v[4:5]
	v_mov_b32_e32 v7, v4
	v_mov_b32_e32 v1, s3
	v_cmp_lt_u64_e32 vcc, s[2:3], v[6:7]
	v_cndmask_b32_e32 v5, v4, v1, vcc
	v_mov_b32_e32 v1, s2
	v_cndmask_b32_e32 v4, v6, v1, vcc
	v_ashrrev_i32_e32 v3, 31, v2
	v_cmp_lt_u64_e32 vcc, v[2:3], v[4:5]
	s_waitcnt lgkmcnt(0)
	s_barrier
	s_and_saveexec_b64 s[6:7], vcc
	s_cbranch_execz .LBB2_8
; %bb.6:
	s_mov_b64 s[8:9], 0
	v_mov_b32_e32 v1, s13
	v_mov_b32_e32 v8, 1
	v_pk_mov_b32 v[6:7], v[2:3], v[2:3] op_sel:[0,1]
	v_mov_b32_e32 v9, v2
.LBB2_7:                                ; =>This Inner Loop Header: Depth=1
	v_add_co_u32_e64 v6, s[2:3], s12, v6
	v_addc_co_u32_e64 v7, s[2:3], v1, v7, s[2:3]
	global_load_sbyte v7, v[6:7], off
	v_add_u32_e32 v6, 1, v9
	v_mov_b32_e32 v9, v6
	s_waitcnt vmcnt(0)
	v_lshl_add_u32 v7, v7, 2, 0
	ds_add_u32 v7, v8
	v_ashrrev_i32_e32 v7, 31, v6
	v_cmp_le_u64_e64 s[2:3], v[4:5], v[6:7]
	s_or_b64 s[8:9], s[2:3], s[8:9]
	s_andn2_b64 exec, exec, s[8:9]
	s_cbranch_execnz .LBB2_7
.LBB2_8:
	s_or_b64 exec, exec, s[6:7]
	s_load_dwordx8 s[4:11], s[4:5], 0x8
	s_lshl_b32 s20, s14, 2
	s_add_i32 s19, s20, 0
	s_add_i32 s18, s19, s20
	v_cmp_eq_u32_e64 s[2:3], 0, v0
	s_waitcnt lgkmcnt(0)
	s_barrier
	s_and_saveexec_b64 s[16:17], s[2:3]
	s_cbranch_execz .LBB2_17
; %bb.9:
	v_mov_b32_e32 v1, 0
	v_mov_b32_e32 v6, s19
	s_cmp_lt_i32 s14, 1
	ds_write_b32 v6, v1
	s_cbranch_scc1 .LBB2_16
; %bb.10:
	s_add_i32 s21, s15, -1
	s_mov_b32 s2, 0
	s_cmp_lt_u32 s14, 8
	s_mov_b32 s27, 0
	s_cbranch_scc1 .LBB2_13
; %bb.11:
	s_abs_i32 s3, s15
	v_cvt_f32_u32_e32 v6, s3
	s_sub_i32 s25, 0, s3
	s_and_b32 s2, s14, 0x7ffffff8
	s_ashr_i32 s22, s15, 31
	v_rcp_iflag_f32_e32 v6, v6
	s_mov_b32 s23, 0
	s_lshl_b32 s24, s14, 3
	v_mul_f32_e32 v6, 0x4f7ffffe, v6
	v_cvt_u32_f32_e32 v6, v6
	v_readfirstlane_b32 s26, v6
	s_mul_i32 s25, s25, s26
	s_mul_hi_u32 s25, s26, s25
	s_add_i32 s25, s26, s25
	s_mov_b32 s26, 0
.LBB2_12:                               ; =>This Inner Loop Header: Depth=1
	v_mov_b32_e32 v6, s23
	ds_read_b32 v7, v6
	s_mul_i32 s28, s27, s15
	v_mov_b32_e32 v9, s28
	s_waitcnt lgkmcnt(0)
	v_readfirstlane_b32 s28, v7
	s_add_i32 s28, s21, s28
	s_ashr_i32 s29, s28, 31
	s_abs_i32 s28, s28
	s_mul_hi_u32 s30, s28, s25
	s_mul_i32 s31, s30, s3
	s_sub_i32 s28, s28, s31
	s_xor_b32 s29, s29, s22
	s_add_i32 s33, s30, 1
	s_sub_i32 s31, s28, s3
	s_cmp_ge_u32 s28, s3
	s_cselect_b32 s30, s33, s30
	s_cselect_b32 s28, s31, s28
	s_add_i32 s31, s30, 1
	s_cmp_ge_u32 s28, s3
	s_cselect_b32 s28, s31, s30
	s_xor_b32 s28, s28, s29
	s_sub_i32 s28, s28, s29
	s_add_i32 s30, s23, s20
	s_add_i32 s27, s27, s28
	;; [unrolled: 1-line block ×3, first 2 shown]
	v_mov_b32_e32 v7, s30
	v_mov_b32_e32 v10, s27
	;; [unrolled: 1-line block ×3, first 2 shown]
	ds_write_b32 v7, v10 offset:4
	ds_write_b32 v8, v9 offset:4
	ds_read_b32 v10, v6 offset:4
	s_mul_i32 s28, s27, s15
	v_mov_b32_e32 v9, s28
	s_waitcnt lgkmcnt(0)
	v_readfirstlane_b32 s28, v10
	s_add_i32 s28, s21, s28
	s_ashr_i32 s29, s28, 31
	s_abs_i32 s28, s28
	s_mul_hi_u32 s30, s28, s25
	s_mul_i32 s31, s30, s3
	s_sub_i32 s28, s28, s31
	s_xor_b32 s29, s29, s22
	s_add_i32 s33, s30, 1
	s_sub_i32 s31, s28, s3
	s_cmp_ge_u32 s28, s3
	s_cselect_b32 s30, s33, s30
	s_cselect_b32 s28, s31, s28
	s_add_i32 s31, s30, 1
	s_cmp_ge_u32 s28, s3
	s_cselect_b32 s28, s31, s30
	s_xor_b32 s28, s28, s29
	s_sub_i32 s28, s28, s29
	s_add_i32 s27, s27, s28
	v_mov_b32_e32 v10, s27
	ds_write_b32 v7, v10 offset:8
	ds_write_b32 v8, v9 offset:8
	ds_read_b32 v10, v6 offset:8
	s_mul_i32 s28, s27, s15
	v_mov_b32_e32 v9, s28
	s_waitcnt lgkmcnt(0)
	v_readfirstlane_b32 s28, v10
	s_add_i32 s28, s21, s28
	s_ashr_i32 s29, s28, 31
	s_abs_i32 s28, s28
	s_mul_hi_u32 s30, s28, s25
	s_mul_i32 s31, s30, s3
	s_sub_i32 s28, s28, s31
	s_xor_b32 s29, s29, s22
	s_add_i32 s33, s30, 1
	s_sub_i32 s31, s28, s3
	s_cmp_ge_u32 s28, s3
	s_cselect_b32 s30, s33, s30
	s_cselect_b32 s28, s31, s28
	s_add_i32 s31, s30, 1
	s_cmp_ge_u32 s28, s3
	s_cselect_b32 s28, s31, s30
	s_xor_b32 s28, s28, s29
	s_sub_i32 s28, s28, s29
	s_add_i32 s27, s27, s28
	v_mov_b32_e32 v10, s27
	;; [unrolled: 26-line block ×6, first 2 shown]
	ds_write_b32 v7, v10 offset:28
	ds_write_b32 v8, v9 offset:28
	ds_read_b32 v6, v6 offset:28
	s_mul_i32 s28, s27, s15
	v_mov_b32_e32 v9, s28
	s_waitcnt lgkmcnt(0)
	v_readfirstlane_b32 s28, v6
	s_add_i32 s28, s21, s28
	s_ashr_i32 s29, s28, 31
	s_abs_i32 s28, s28
	s_mul_hi_u32 s30, s28, s25
	s_mul_i32 s31, s30, s3
	s_sub_i32 s28, s28, s31
	s_xor_b32 s29, s29, s22
	s_add_i32 s33, s30, 1
	s_sub_i32 s31, s28, s3
	s_cmp_ge_u32 s28, s3
	s_cselect_b32 s30, s33, s30
	s_cselect_b32 s28, s31, s28
	s_add_i32 s31, s30, 1
	s_cmp_ge_u32 s28, s3
	s_cselect_b32 s28, s31, s30
	s_xor_b32 s28, s28, s29
	s_sub_i32 s28, s28, s29
	s_add_i32 s26, s26, 8
	s_add_i32 s23, s23, 32
	;; [unrolled: 1-line block ×3, first 2 shown]
	v_mov_b32_e32 v6, s27
	s_cmp_eq_u32 s2, s26
	ds_write_b32 v7, v6 offset:32
	ds_write_b32 v8, v9 offset:32
	s_cbranch_scc0 .LBB2_12
.LBB2_13:
	s_and_b32 s22, s14, 7
	s_cmp_eq_u32 s22, 0
	s_cbranch_scc1 .LBB2_16
; %bb.14:
	s_abs_i32 s23, s15
	v_cvt_f32_u32_e32 v6, s23
	s_sub_i32 s3, 0, s23
	s_lshl_b32 s2, s2, 2
	s_ashr_i32 s24, s15, 31
	v_rcp_iflag_f32_e32 v6, v6
	s_lshl_b32 s14, s14, 3
	s_add_i32 s25, s2, 0
	v_mul_f32_e32 v6, 0x4f7ffffe, v6
	v_cvt_u32_f32_e32 v6, v6
	v_mul_lo_u32 v7, s3, v6
	v_mul_hi_u32 v7, v6, v7
	v_add_u32_e32 v6, v6, v7
	v_mov_b32_e32 v7, s27
.LBB2_15:                               ; =>This Inner Loop Header: Depth=1
	v_mov_b32_e32 v8, s25
	ds_read_b32 v8, v8
	s_add_i32 s2, s25, s20
	s_add_i32 s3, s25, s14
	v_mov_b32_e32 v10, s2
	v_mov_b32_e32 v11, s3
	s_waitcnt lgkmcnt(0)
	v_add_u32_e32 v8, s21, v8
	v_sub_u32_e32 v13, 0, v8
	v_ashrrev_i32_e32 v12, 31, v8
	v_max_i32_e32 v8, v8, v13
	v_mul_hi_u32 v13, v8, v6
	v_mul_lo_u32 v14, v13, s23
	v_sub_u32_e32 v8, v8, v14
	v_add_u32_e32 v15, 1, v13
	v_subrev_u32_e32 v14, s23, v8
	v_cmp_le_u32_e64 s[2:3], s23, v8
	v_cndmask_b32_e64 v13, v13, v15, s[2:3]
	v_cndmask_b32_e64 v8, v8, v14, s[2:3]
	v_add_u32_e32 v14, 1, v13
	v_cmp_le_u32_e64 s[2:3], s23, v8
	v_xor_b32_e32 v12, s24, v12
	v_cndmask_b32_e64 v8, v13, v14, s[2:3]
	v_xor_b32_e32 v8, v8, v12
	s_add_i32 s25, s25, 4
	s_add_i32 s22, s22, -1
	v_sub_u32_e32 v8, v8, v12
	v_mul_lo_u32 v9, v7, s15
	s_cmp_lg_u32 s22, 0
	v_add_u32_e32 v7, v7, v8
	ds_write_b32 v10, v7 offset:4
	ds_write_b32 v11, v9 offset:4
	s_cbranch_scc1 .LBB2_15
.LBB2_16:
	v_mov_b32_e32 v6, s18
	ds_read_b32 v6, v6
	s_waitcnt lgkmcnt(0)
	v_mul_lo_u32 v6, v6, s15
	global_store_dword v1, v6, s[10:11]
.LBB2_17:
	s_or_b64 exec, exec, s[16:17]
	s_barrier
	s_and_saveexec_b64 s[10:11], s[0:1]
	s_cbranch_execz .LBB2_21
; %bb.18:
	v_lshl_add_u32 v1, v0, 2, s19
	ds_read2_b32 v[6:7], v1 offset1:1
	s_waitcnt lgkmcnt(0)
	v_cmp_lt_i32_e64 s[0:1], v6, v7
	s_and_b64 exec, exec, s[0:1]
	s_cbranch_execz .LBB2_21
; %bb.19:
	v_lshl_add_u32 v1, v0, 2, 0
	v_ashrrev_i32_e32 v9, 31, v6
	v_mov_b32_e32 v8, v6
	ds_read_b32 v1, v1
	v_lshlrev_b64 v[10:11], 2, v[8:9]
	v_mov_b32_e32 v9, s7
	v_add_co_u32_e64 v8, s[0:1], s6, v10
	v_addc_co_u32_e64 v9, s[0:1], v9, v11, s[0:1]
	v_mov_b32_e32 v12, s9
	v_add_co_u32_e64 v10, s[0:1], s8, v10
	v_addc_co_u32_e64 v11, s[0:1], v12, v11, s[0:1]
	s_mov_b64 s[6:7], 0
.LBB2_20:                               ; =>This Inner Loop Header: Depth=1
	global_store_dword v[8:9], v0, off
	s_waitcnt lgkmcnt(0)
	global_store_dword v[10:11], v1, off
	v_add_co_u32_e64 v8, s[0:1], 4, v8
	v_add_u32_e32 v6, 1, v6
	v_addc_co_u32_e64 v9, s[0:1], 0, v9, s[0:1]
	v_add_co_u32_e64 v10, s[0:1], 4, v10
	v_cmp_ge_i32_e64 s[2:3], v6, v7
	v_subrev_u32_e32 v1, s15, v1
	s_or_b64 s[6:7], s[2:3], s[6:7]
	v_addc_co_u32_e64 v11, s[0:1], 0, v11, s[0:1]
	s_andn2_b64 exec, exec, s[6:7]
	s_cbranch_execnz .LBB2_20
.LBB2_21:
	s_or_b64 exec, exec, s[10:11]
	s_barrier
	s_and_saveexec_b64 s[0:1], vcc
	s_cbranch_execz .LBB2_24
; %bb.22:
	s_add_i32 s18, s18, 4
	s_mov_b64 s[0:1], 0
	v_mov_b32_e32 v0, s13
	v_mov_b32_e32 v1, 1
	;; [unrolled: 1-line block ×3, first 2 shown]
.LBB2_23:                               ; =>This Inner Loop Header: Depth=1
	v_add_co_u32_e32 v8, vcc, s12, v2
	v_addc_co_u32_e32 v9, vcc, v0, v3, vcc
	global_load_sbyte v3, v[8:9], off
	s_waitcnt vmcnt(0)
	v_lshl_add_u32 v3, v3, 2, s18
	ds_add_rtn_u32 v8, v3, v1
	s_waitcnt lgkmcnt(0)
	v_ashrrev_i32_e32 v9, 31, v8
	v_lshlrev_b64 v[8:9], 2, v[8:9]
	v_add_co_u32_e32 v8, vcc, s4, v8
	v_addc_co_u32_e32 v9, vcc, v6, v9, vcc
	global_store_dword v[8:9], v2, off
	v_add_u32_e32 v2, 1, v2
	v_ashrrev_i32_e32 v3, 31, v2
	v_cmp_le_u64_e32 vcc, v[4:5], v[2:3]
	s_or_b64 s[0:1], vcc, s[0:1]
	s_andn2_b64 exec, exec, s[0:1]
	s_cbranch_execnz .LBB2_23
.LBB2_24:
	s_endpgm
.LBB2_25:
                                        ; implicit-def: $vgpr4_vgpr5
	s_andn2_b64 vcc, exec, s[0:1]
	s_cbranch_vccz .LBB2_2
	s_branch .LBB2_3
	.section	.rodata,"a",@progbits
	.p2align	6, 0x0
	.amdhsa_kernel _ZN4vllm27moe_align_block_size_kernelIaEEvPT_PiS3_S3_S3_iim
		.amdhsa_group_segment_fixed_size 0
		.amdhsa_private_segment_fixed_size 0
		.amdhsa_kernarg_size 312
		.amdhsa_user_sgpr_count 6
		.amdhsa_user_sgpr_private_segment_buffer 1
		.amdhsa_user_sgpr_dispatch_ptr 0
		.amdhsa_user_sgpr_queue_ptr 0
		.amdhsa_user_sgpr_kernarg_segment_ptr 1
		.amdhsa_user_sgpr_dispatch_id 0
		.amdhsa_user_sgpr_flat_scratch_init 0
		.amdhsa_user_sgpr_kernarg_preload_length 0
		.amdhsa_user_sgpr_kernarg_preload_offset 0
		.amdhsa_user_sgpr_private_segment_size 0
		.amdhsa_uses_dynamic_stack 0
		.amdhsa_system_sgpr_private_segment_wavefront_offset 0
		.amdhsa_system_sgpr_workgroup_id_x 1
		.amdhsa_system_sgpr_workgroup_id_y 0
		.amdhsa_system_sgpr_workgroup_id_z 0
		.amdhsa_system_sgpr_workgroup_info 0
		.amdhsa_system_vgpr_workitem_id 0
		.amdhsa_next_free_vgpr 16
		.amdhsa_next_free_sgpr 34
		.amdhsa_accum_offset 16
		.amdhsa_reserve_vcc 1
		.amdhsa_reserve_flat_scratch 0
		.amdhsa_float_round_mode_32 0
		.amdhsa_float_round_mode_16_64 0
		.amdhsa_float_denorm_mode_32 3
		.amdhsa_float_denorm_mode_16_64 3
		.amdhsa_dx10_clamp 1
		.amdhsa_ieee_mode 1
		.amdhsa_fp16_overflow 0
		.amdhsa_tg_split 0
		.amdhsa_exception_fp_ieee_invalid_op 0
		.amdhsa_exception_fp_denorm_src 0
		.amdhsa_exception_fp_ieee_div_zero 0
		.amdhsa_exception_fp_ieee_overflow 0
		.amdhsa_exception_fp_ieee_underflow 0
		.amdhsa_exception_fp_ieee_inexact 0
		.amdhsa_exception_int_div_zero 0
	.end_amdhsa_kernel
	.section	.text._ZN4vllm27moe_align_block_size_kernelIaEEvPT_PiS3_S3_S3_iim,"axG",@progbits,_ZN4vllm27moe_align_block_size_kernelIaEEvPT_PiS3_S3_S3_iim,comdat
.Lfunc_end2:
	.size	_ZN4vllm27moe_align_block_size_kernelIaEEvPT_PiS3_S3_S3_iim, .Lfunc_end2-_ZN4vllm27moe_align_block_size_kernelIaEEvPT_PiS3_S3_S3_iim
                                        ; -- End function
	.section	.AMDGPU.csdata,"",@progbits
; Kernel info:
; codeLenInByte = 2640
; NumSgprs: 38
; NumVgprs: 16
; NumAgprs: 0
; TotalNumVgprs: 16
; ScratchSize: 0
; MemoryBound: 0
; FloatMode: 240
; IeeeMode: 1
; LDSByteSize: 0 bytes/workgroup (compile time only)
; SGPRBlocks: 4
; VGPRBlocks: 1
; NumSGPRsForWavesPerEU: 38
; NumVGPRsForWavesPerEU: 16
; AccumOffset: 16
; Occupancy: 8
; WaveLimiterHint : 0
; COMPUTE_PGM_RSRC2:SCRATCH_EN: 0
; COMPUTE_PGM_RSRC2:USER_SGPR: 6
; COMPUTE_PGM_RSRC2:TRAP_HANDLER: 0
; COMPUTE_PGM_RSRC2:TGID_X_EN: 1
; COMPUTE_PGM_RSRC2:TGID_Y_EN: 0
; COMPUTE_PGM_RSRC2:TGID_Z_EN: 0
; COMPUTE_PGM_RSRC2:TIDIG_COMP_CNT: 0
; COMPUTE_PGM_RSRC3_GFX90A:ACCUM_OFFSET: 3
; COMPUTE_PGM_RSRC3_GFX90A:TG_SPLIT: 0
	.section	.text._ZN4vllm27moe_align_block_size_kernelIsEEvPT_PiS3_S3_S3_iim,"axG",@progbits,_ZN4vllm27moe_align_block_size_kernelIsEEvPT_PiS3_S3_S3_iim,comdat
	.protected	_ZN4vllm27moe_align_block_size_kernelIsEEvPT_PiS3_S3_S3_iim ; -- Begin function _ZN4vllm27moe_align_block_size_kernelIsEEvPT_PiS3_S3_S3_iim
	.globl	_ZN4vllm27moe_align_block_size_kernelIsEEvPT_PiS3_S3_S3_iim
	.p2align	8
	.type	_ZN4vllm27moe_align_block_size_kernelIsEEvPT_PiS3_S3_S3_iim,@function
_ZN4vllm27moe_align_block_size_kernelIsEEvPT_PiS3_S3_S3_iim: ; @_ZN4vllm27moe_align_block_size_kernelIsEEvPT_PiS3_S3_S3_iim
; %bb.0:
	s_load_dword s0, s[4:5], 0x44
	s_load_dwordx2 s[2:3], s[4:5], 0x30
	s_mov_b32 s6, 0
	s_waitcnt lgkmcnt(0)
	s_and_b32 s8, s0, 0xffff
	s_add_u32 s0, s2, s8
	s_addc_u32 s1, s3, 0
	s_add_u32 s9, s0, -1
	s_addc_u32 s7, s1, -1
	s_cmp_lg_u64 s[6:7], 0
	s_mov_b64 s[0:1], -1
	s_cbranch_scc0 .LBB3_25
; %bb.1:
	v_cvt_f32_u32_e32 v1, s8
	v_mov_b32_e32 v2, 0x4f800000
	s_sub_u32 s6, 0, s8
	s_subb_u32 s10, 0, 0
	v_mac_f32_e32 v1, 0, v2
	v_rcp_f32_e32 v1, v1
	v_mul_f32_e32 v1, 0x5f7ffffc, v1
	v_mul_f32_e32 v2, 0x2f800000, v1
	v_trunc_f32_e32 v2, v2
	v_madmk_f32 v1, v2, 0xcf800000, v1
	v_cvt_u32_f32_e32 v2, v2
	v_cvt_u32_f32_e32 v1, v1
	v_readfirstlane_b32 s11, v2
	v_readfirstlane_b32 s12, v1
	s_mul_i32 s13, s6, s11
	s_mul_hi_u32 s15, s6, s12
	s_mul_i32 s14, s10, s12
	s_add_i32 s13, s15, s13
	s_add_i32 s13, s13, s14
	s_mul_i32 s16, s6, s12
	s_mul_hi_u32 s14, s12, s13
	s_mul_i32 s15, s12, s13
	s_mul_hi_u32 s12, s12, s16
	s_add_u32 s12, s12, s15
	s_addc_u32 s14, 0, s14
	s_mul_hi_u32 s17, s11, s16
	s_mul_i32 s16, s11, s16
	s_add_u32 s12, s12, s16
	s_mul_hi_u32 s15, s11, s13
	s_addc_u32 s12, s14, s17
	s_addc_u32 s14, s15, 0
	s_mul_i32 s13, s11, s13
	s_add_u32 s12, s12, s13
	s_addc_u32 s13, 0, s14
	v_add_co_u32_e32 v1, vcc, s12, v1
	s_cmp_lg_u64 vcc, 0
	s_addc_u32 s11, s11, s13
	v_readfirstlane_b32 s13, v1
	s_mul_i32 s12, s6, s11
	s_mul_hi_u32 s14, s6, s13
	s_add_i32 s12, s14, s12
	s_mul_i32 s10, s10, s13
	s_add_i32 s12, s12, s10
	s_mul_i32 s6, s6, s13
	s_mul_hi_u32 s14, s11, s6
	s_mul_i32 s15, s11, s6
	s_mul_i32 s17, s13, s12
	s_mul_hi_u32 s6, s13, s6
	s_mul_hi_u32 s16, s13, s12
	s_add_u32 s6, s6, s17
	s_addc_u32 s13, 0, s16
	s_add_u32 s6, s6, s15
	s_mul_hi_u32 s10, s11, s12
	s_addc_u32 s6, s13, s14
	s_addc_u32 s10, s10, 0
	s_mul_i32 s12, s11, s12
	s_add_u32 s6, s6, s12
	s_addc_u32 s10, 0, s10
	v_add_co_u32_e32 v1, vcc, s6, v1
	s_cmp_lg_u64 vcc, 0
	s_addc_u32 s6, s11, s10
	v_readfirstlane_b32 s12, v1
	s_mul_i32 s11, s9, s6
	s_mul_hi_u32 s13, s9, s12
	s_mul_hi_u32 s10, s9, s6
	s_add_u32 s11, s13, s11
	s_addc_u32 s10, 0, s10
	s_mul_hi_u32 s14, s7, s12
	s_mul_i32 s12, s7, s12
	s_add_u32 s11, s11, s12
	s_mul_hi_u32 s13, s7, s6
	s_addc_u32 s10, s10, s14
	s_addc_u32 s11, s13, 0
	s_mul_i32 s6, s7, s6
	s_add_u32 s6, s10, s6
	s_addc_u32 s10, 0, s11
	s_add_u32 s11, s6, 1
	s_addc_u32 s12, s10, 0
	s_add_u32 s13, s6, 2
	s_mul_i32 s15, s8, s10
	s_mul_hi_u32 s16, s8, s6
	s_addc_u32 s14, s10, 0
	s_add_i32 s16, s16, s15
	s_mul_i32 s15, s8, s6
	v_mov_b32_e32 v1, s15
	v_sub_co_u32_e32 v1, vcc, s9, v1
	s_cmp_lg_u64 vcc, 0
	s_subb_u32 s7, s7, s16
	v_subrev_co_u32_e32 v2, vcc, s8, v1
	s_cmp_lg_u64 vcc, 0
	s_subb_u32 s15, s7, 0
	v_cmp_le_u32_e32 vcc, s8, v2
	s_cmp_eq_u32 s15, 0
	v_cndmask_b32_e64 v2, 0, -1, vcc
	s_cselect_b64 vcc, -1, 0
	v_cndmask_b32_e32 v2, -1, v2, vcc
	v_mov_b32_e32 v3, s11
	v_mov_b32_e32 v4, s13
	v_cmp_ne_u32_e32 vcc, 0, v2
	v_cndmask_b32_e32 v2, v3, v4, vcc
	v_mov_b32_e32 v3, s12
	v_mov_b32_e32 v4, s14
	v_cndmask_b32_e32 v3, v3, v4, vcc
	v_cmp_le_u32_e32 vcc, s8, v1
	s_cmp_eq_u32 s7, 0
	v_cndmask_b32_e64 v1, 0, -1, vcc
	s_cselect_b64 vcc, -1, 0
	v_cndmask_b32_e32 v1, -1, v1, vcc
	v_mov_b32_e32 v4, s10
	v_cmp_ne_u32_e32 vcc, 0, v1
	v_mov_b32_e32 v1, s6
	v_cndmask_b32_e32 v5, v4, v3, vcc
	v_cndmask_b32_e32 v4, v1, v2, vcc
	s_cbranch_execnz .LBB3_3
.LBB3_2:
	v_cvt_f32_u32_e32 v1, s8
	s_sub_i32 s0, 0, s8
	s_mov_b32 s1, 0
	v_rcp_iflag_f32_e32 v1, v1
	v_mul_f32_e32 v1, 0x4f7ffffe, v1
	v_cvt_u32_f32_e32 v1, v1
	v_readfirstlane_b32 s6, v1
	s_mul_i32 s0, s0, s6
	s_mul_hi_u32 s0, s6, s0
	s_add_i32 s6, s6, s0
	s_mul_hi_u32 s0, s9, s6
	s_mul_i32 s7, s0, s8
	s_sub_i32 s7, s9, s7
	s_add_i32 s6, s0, 1
	s_sub_i32 s9, s7, s8
	s_cmp_ge_u32 s7, s8
	s_cselect_b32 s0, s6, s0
	s_cselect_b32 s7, s9, s7
	s_add_i32 s6, s0, 1
	s_cmp_ge_u32 s7, s8
	s_cselect_b32 s0, s6, s0
	v_pk_mov_b32 v[4:5], s[0:1], s[0:1] op_sel:[0,1]
.LBB3_3:
	s_load_dwordx2 s[14:15], s[4:5], 0x28
	s_load_dwordx2 s[12:13], s[4:5], 0x0
	s_waitcnt lgkmcnt(0)
	v_cmp_gt_u32_e64 s[0:1], s14, v0
	s_and_saveexec_b64 s[6:7], s[0:1]
	s_cbranch_execz .LBB3_5
; %bb.4:
	v_lshl_add_u32 v1, v0, 2, 0
	v_mov_b32_e32 v2, 0
	ds_write_b32 v1, v2
.LBB3_5:
	s_or_b64 exec, exec, s[6:7]
	v_mad_u64_u32 v[6:7], s[6:7], v4, v0, v[4:5]
	v_mul_lo_u32 v2, v4, v0
	v_mov_b32_e32 v4, v7
	v_mad_u64_u32 v[4:5], s[6:7], v5, v0, v[4:5]
	v_mov_b32_e32 v7, v4
	v_mov_b32_e32 v1, s3
	v_cmp_lt_u64_e32 vcc, s[2:3], v[6:7]
	v_cndmask_b32_e32 v5, v4, v1, vcc
	v_mov_b32_e32 v1, s2
	v_cndmask_b32_e32 v4, v6, v1, vcc
	v_ashrrev_i32_e32 v3, 31, v2
	v_cmp_lt_u64_e32 vcc, v[2:3], v[4:5]
	s_waitcnt lgkmcnt(0)
	s_barrier
	s_and_saveexec_b64 s[6:7], vcc
	s_cbranch_execz .LBB3_8
; %bb.6:
	s_mov_b64 s[8:9], 0
	v_mov_b32_e32 v1, 1
	v_mov_b32_e32 v8, s13
	v_pk_mov_b32 v[6:7], v[2:3], v[2:3] op_sel:[0,1]
	v_mov_b32_e32 v9, v2
.LBB3_7:                                ; =>This Inner Loop Header: Depth=1
	v_lshlrev_b64 v[6:7], 1, v[6:7]
	v_add_co_u32_e64 v6, s[2:3], s12, v6
	v_addc_co_u32_e64 v7, s[2:3], v8, v7, s[2:3]
	global_load_sshort v7, v[6:7], off
	v_add_u32_e32 v6, 1, v9
	v_mov_b32_e32 v9, v6
	s_waitcnt vmcnt(0)
	v_lshl_add_u32 v7, v7, 2, 0
	ds_add_u32 v7, v1
	v_ashrrev_i32_e32 v7, 31, v6
	v_cmp_le_u64_e64 s[2:3], v[4:5], v[6:7]
	s_or_b64 s[8:9], s[2:3], s[8:9]
	s_andn2_b64 exec, exec, s[8:9]
	s_cbranch_execnz .LBB3_7
.LBB3_8:
	s_or_b64 exec, exec, s[6:7]
	s_load_dwordx8 s[4:11], s[4:5], 0x8
	s_lshl_b32 s20, s14, 2
	s_add_i32 s19, s20, 0
	s_add_i32 s18, s19, s20
	v_cmp_eq_u32_e64 s[2:3], 0, v0
	s_waitcnt lgkmcnt(0)
	s_barrier
	s_and_saveexec_b64 s[16:17], s[2:3]
	s_cbranch_execz .LBB3_17
; %bb.9:
	v_mov_b32_e32 v1, 0
	v_mov_b32_e32 v6, s19
	s_cmp_lt_i32 s14, 1
	ds_write_b32 v6, v1
	s_cbranch_scc1 .LBB3_16
; %bb.10:
	s_add_i32 s21, s15, -1
	s_mov_b32 s2, 0
	s_cmp_lt_u32 s14, 8
	s_mov_b32 s27, 0
	s_cbranch_scc1 .LBB3_13
; %bb.11:
	s_abs_i32 s3, s15
	v_cvt_f32_u32_e32 v6, s3
	s_sub_i32 s25, 0, s3
	s_and_b32 s2, s14, 0x7ffffff8
	s_ashr_i32 s22, s15, 31
	v_rcp_iflag_f32_e32 v6, v6
	s_mov_b32 s23, 0
	s_lshl_b32 s24, s14, 3
	v_mul_f32_e32 v6, 0x4f7ffffe, v6
	v_cvt_u32_f32_e32 v6, v6
	v_readfirstlane_b32 s26, v6
	s_mul_i32 s25, s25, s26
	s_mul_hi_u32 s25, s26, s25
	s_add_i32 s25, s26, s25
	s_mov_b32 s26, 0
.LBB3_12:                               ; =>This Inner Loop Header: Depth=1
	v_mov_b32_e32 v6, s23
	ds_read_b32 v7, v6
	s_mul_i32 s28, s27, s15
	v_mov_b32_e32 v9, s28
	s_waitcnt lgkmcnt(0)
	v_readfirstlane_b32 s28, v7
	s_add_i32 s28, s21, s28
	s_ashr_i32 s29, s28, 31
	s_abs_i32 s28, s28
	s_mul_hi_u32 s30, s28, s25
	s_mul_i32 s31, s30, s3
	s_sub_i32 s28, s28, s31
	s_xor_b32 s29, s29, s22
	s_add_i32 s33, s30, 1
	s_sub_i32 s31, s28, s3
	s_cmp_ge_u32 s28, s3
	s_cselect_b32 s30, s33, s30
	s_cselect_b32 s28, s31, s28
	s_add_i32 s31, s30, 1
	s_cmp_ge_u32 s28, s3
	s_cselect_b32 s28, s31, s30
	s_xor_b32 s28, s28, s29
	s_sub_i32 s28, s28, s29
	s_add_i32 s30, s23, s20
	s_add_i32 s27, s27, s28
	;; [unrolled: 1-line block ×3, first 2 shown]
	v_mov_b32_e32 v7, s30
	v_mov_b32_e32 v10, s27
	;; [unrolled: 1-line block ×3, first 2 shown]
	ds_write_b32 v7, v10 offset:4
	ds_write_b32 v8, v9 offset:4
	ds_read_b32 v10, v6 offset:4
	s_mul_i32 s28, s27, s15
	v_mov_b32_e32 v9, s28
	s_waitcnt lgkmcnt(0)
	v_readfirstlane_b32 s28, v10
	s_add_i32 s28, s21, s28
	s_ashr_i32 s29, s28, 31
	s_abs_i32 s28, s28
	s_mul_hi_u32 s30, s28, s25
	s_mul_i32 s31, s30, s3
	s_sub_i32 s28, s28, s31
	s_xor_b32 s29, s29, s22
	s_add_i32 s33, s30, 1
	s_sub_i32 s31, s28, s3
	s_cmp_ge_u32 s28, s3
	s_cselect_b32 s30, s33, s30
	s_cselect_b32 s28, s31, s28
	s_add_i32 s31, s30, 1
	s_cmp_ge_u32 s28, s3
	s_cselect_b32 s28, s31, s30
	s_xor_b32 s28, s28, s29
	s_sub_i32 s28, s28, s29
	s_add_i32 s27, s27, s28
	v_mov_b32_e32 v10, s27
	ds_write_b32 v7, v10 offset:8
	ds_write_b32 v8, v9 offset:8
	ds_read_b32 v10, v6 offset:8
	s_mul_i32 s28, s27, s15
	v_mov_b32_e32 v9, s28
	s_waitcnt lgkmcnt(0)
	v_readfirstlane_b32 s28, v10
	s_add_i32 s28, s21, s28
	s_ashr_i32 s29, s28, 31
	s_abs_i32 s28, s28
	s_mul_hi_u32 s30, s28, s25
	s_mul_i32 s31, s30, s3
	s_sub_i32 s28, s28, s31
	s_xor_b32 s29, s29, s22
	s_add_i32 s33, s30, 1
	s_sub_i32 s31, s28, s3
	s_cmp_ge_u32 s28, s3
	s_cselect_b32 s30, s33, s30
	s_cselect_b32 s28, s31, s28
	s_add_i32 s31, s30, 1
	s_cmp_ge_u32 s28, s3
	s_cselect_b32 s28, s31, s30
	s_xor_b32 s28, s28, s29
	s_sub_i32 s28, s28, s29
	s_add_i32 s27, s27, s28
	v_mov_b32_e32 v10, s27
	ds_write_b32 v7, v10 offset:12
	ds_write_b32 v8, v9 offset:12
	ds_read_b32 v10, v6 offset:12
	s_mul_i32 s28, s27, s15
	v_mov_b32_e32 v9, s28
	s_waitcnt lgkmcnt(0)
	v_readfirstlane_b32 s28, v10
	s_add_i32 s28, s21, s28
	s_ashr_i32 s29, s28, 31
	s_abs_i32 s28, s28
	s_mul_hi_u32 s30, s28, s25
	s_mul_i32 s31, s30, s3
	s_sub_i32 s28, s28, s31
	s_xor_b32 s29, s29, s22
	s_add_i32 s33, s30, 1
	s_sub_i32 s31, s28, s3
	s_cmp_ge_u32 s28, s3
	s_cselect_b32 s30, s33, s30
	s_cselect_b32 s28, s31, s28
	s_add_i32 s31, s30, 1
	s_cmp_ge_u32 s28, s3
	s_cselect_b32 s28, s31, s30
	s_xor_b32 s28, s28, s29
	s_sub_i32 s28, s28, s29
	s_add_i32 s27, s27, s28
	v_mov_b32_e32 v10, s27
	ds_write_b32 v7, v10 offset:16
	ds_write_b32 v8, v9 offset:16
	ds_read_b32 v10, v6 offset:16
	s_mul_i32 s28, s27, s15
	v_mov_b32_e32 v9, s28
	s_waitcnt lgkmcnt(0)
	v_readfirstlane_b32 s28, v10
	s_add_i32 s28, s21, s28
	s_ashr_i32 s29, s28, 31
	s_abs_i32 s28, s28
	s_mul_hi_u32 s30, s28, s25
	s_mul_i32 s31, s30, s3
	s_sub_i32 s28, s28, s31
	s_xor_b32 s29, s29, s22
	s_add_i32 s33, s30, 1
	s_sub_i32 s31, s28, s3
	s_cmp_ge_u32 s28, s3
	s_cselect_b32 s30, s33, s30
	s_cselect_b32 s28, s31, s28
	s_add_i32 s31, s30, 1
	s_cmp_ge_u32 s28, s3
	s_cselect_b32 s28, s31, s30
	s_xor_b32 s28, s28, s29
	s_sub_i32 s28, s28, s29
	s_add_i32 s27, s27, s28
	v_mov_b32_e32 v10, s27
	ds_write_b32 v7, v10 offset:20
	ds_write_b32 v8, v9 offset:20
	ds_read_b32 v10, v6 offset:20
	s_mul_i32 s28, s27, s15
	v_mov_b32_e32 v9, s28
	s_waitcnt lgkmcnt(0)
	v_readfirstlane_b32 s28, v10
	s_add_i32 s28, s21, s28
	s_ashr_i32 s29, s28, 31
	s_abs_i32 s28, s28
	s_mul_hi_u32 s30, s28, s25
	s_mul_i32 s31, s30, s3
	s_sub_i32 s28, s28, s31
	s_xor_b32 s29, s29, s22
	s_add_i32 s33, s30, 1
	s_sub_i32 s31, s28, s3
	s_cmp_ge_u32 s28, s3
	s_cselect_b32 s30, s33, s30
	s_cselect_b32 s28, s31, s28
	s_add_i32 s31, s30, 1
	s_cmp_ge_u32 s28, s3
	s_cselect_b32 s28, s31, s30
	s_xor_b32 s28, s28, s29
	s_sub_i32 s28, s28, s29
	s_add_i32 s27, s27, s28
	v_mov_b32_e32 v10, s27
	ds_write_b32 v7, v10 offset:24
	ds_write_b32 v8, v9 offset:24
	ds_read_b32 v10, v6 offset:24
	s_mul_i32 s28, s27, s15
	v_mov_b32_e32 v9, s28
	s_waitcnt lgkmcnt(0)
	v_readfirstlane_b32 s28, v10
	s_add_i32 s28, s21, s28
	s_ashr_i32 s29, s28, 31
	s_abs_i32 s28, s28
	s_mul_hi_u32 s30, s28, s25
	s_mul_i32 s31, s30, s3
	s_sub_i32 s28, s28, s31
	s_xor_b32 s29, s29, s22
	s_add_i32 s33, s30, 1
	s_sub_i32 s31, s28, s3
	s_cmp_ge_u32 s28, s3
	s_cselect_b32 s30, s33, s30
	s_cselect_b32 s28, s31, s28
	s_add_i32 s31, s30, 1
	s_cmp_ge_u32 s28, s3
	s_cselect_b32 s28, s31, s30
	s_xor_b32 s28, s28, s29
	s_sub_i32 s28, s28, s29
	s_add_i32 s27, s27, s28
	v_mov_b32_e32 v10, s27
	ds_write_b32 v7, v10 offset:28
	ds_write_b32 v8, v9 offset:28
	ds_read_b32 v6, v6 offset:28
	s_mul_i32 s28, s27, s15
	v_mov_b32_e32 v9, s28
	s_waitcnt lgkmcnt(0)
	v_readfirstlane_b32 s28, v6
	s_add_i32 s28, s21, s28
	s_ashr_i32 s29, s28, 31
	s_abs_i32 s28, s28
	s_mul_hi_u32 s30, s28, s25
	s_mul_i32 s31, s30, s3
	s_sub_i32 s28, s28, s31
	s_xor_b32 s29, s29, s22
	s_add_i32 s33, s30, 1
	s_sub_i32 s31, s28, s3
	s_cmp_ge_u32 s28, s3
	s_cselect_b32 s30, s33, s30
	s_cselect_b32 s28, s31, s28
	s_add_i32 s31, s30, 1
	s_cmp_ge_u32 s28, s3
	s_cselect_b32 s28, s31, s30
	s_xor_b32 s28, s28, s29
	s_sub_i32 s28, s28, s29
	s_add_i32 s26, s26, 8
	s_add_i32 s23, s23, 32
	;; [unrolled: 1-line block ×3, first 2 shown]
	v_mov_b32_e32 v6, s27
	s_cmp_eq_u32 s2, s26
	ds_write_b32 v7, v6 offset:32
	ds_write_b32 v8, v9 offset:32
	s_cbranch_scc0 .LBB3_12
.LBB3_13:
	s_and_b32 s22, s14, 7
	s_cmp_eq_u32 s22, 0
	s_cbranch_scc1 .LBB3_16
; %bb.14:
	s_abs_i32 s23, s15
	v_cvt_f32_u32_e32 v6, s23
	s_sub_i32 s3, 0, s23
	s_lshl_b32 s2, s2, 2
	s_ashr_i32 s24, s15, 31
	v_rcp_iflag_f32_e32 v6, v6
	s_lshl_b32 s14, s14, 3
	s_add_i32 s25, s2, 0
	v_mul_f32_e32 v6, 0x4f7ffffe, v6
	v_cvt_u32_f32_e32 v6, v6
	v_mul_lo_u32 v7, s3, v6
	v_mul_hi_u32 v7, v6, v7
	v_add_u32_e32 v6, v6, v7
	v_mov_b32_e32 v7, s27
.LBB3_15:                               ; =>This Inner Loop Header: Depth=1
	v_mov_b32_e32 v8, s25
	ds_read_b32 v8, v8
	s_add_i32 s2, s25, s20
	s_add_i32 s3, s25, s14
	v_mov_b32_e32 v10, s2
	v_mov_b32_e32 v11, s3
	s_waitcnt lgkmcnt(0)
	v_add_u32_e32 v8, s21, v8
	v_sub_u32_e32 v13, 0, v8
	v_ashrrev_i32_e32 v12, 31, v8
	v_max_i32_e32 v8, v8, v13
	v_mul_hi_u32 v13, v8, v6
	v_mul_lo_u32 v14, v13, s23
	v_sub_u32_e32 v8, v8, v14
	v_add_u32_e32 v15, 1, v13
	v_subrev_u32_e32 v14, s23, v8
	v_cmp_le_u32_e64 s[2:3], s23, v8
	v_cndmask_b32_e64 v13, v13, v15, s[2:3]
	v_cndmask_b32_e64 v8, v8, v14, s[2:3]
	v_add_u32_e32 v14, 1, v13
	v_cmp_le_u32_e64 s[2:3], s23, v8
	v_xor_b32_e32 v12, s24, v12
	v_cndmask_b32_e64 v8, v13, v14, s[2:3]
	v_xor_b32_e32 v8, v8, v12
	s_add_i32 s25, s25, 4
	s_add_i32 s22, s22, -1
	v_sub_u32_e32 v8, v8, v12
	v_mul_lo_u32 v9, v7, s15
	s_cmp_lg_u32 s22, 0
	v_add_u32_e32 v7, v7, v8
	ds_write_b32 v10, v7 offset:4
	ds_write_b32 v11, v9 offset:4
	s_cbranch_scc1 .LBB3_15
.LBB3_16:
	v_mov_b32_e32 v6, s18
	ds_read_b32 v6, v6
	s_waitcnt lgkmcnt(0)
	v_mul_lo_u32 v6, v6, s15
	global_store_dword v1, v6, s[10:11]
.LBB3_17:
	s_or_b64 exec, exec, s[16:17]
	s_barrier
	s_and_saveexec_b64 s[10:11], s[0:1]
	s_cbranch_execz .LBB3_21
; %bb.18:
	v_lshl_add_u32 v1, v0, 2, s19
	ds_read2_b32 v[6:7], v1 offset1:1
	s_waitcnt lgkmcnt(0)
	v_cmp_lt_i32_e64 s[0:1], v6, v7
	s_and_b64 exec, exec, s[0:1]
	s_cbranch_execz .LBB3_21
; %bb.19:
	v_lshl_add_u32 v1, v0, 2, 0
	v_ashrrev_i32_e32 v9, 31, v6
	v_mov_b32_e32 v8, v6
	ds_read_b32 v1, v1
	v_lshlrev_b64 v[10:11], 2, v[8:9]
	v_mov_b32_e32 v9, s7
	v_add_co_u32_e64 v8, s[0:1], s6, v10
	v_addc_co_u32_e64 v9, s[0:1], v9, v11, s[0:1]
	v_mov_b32_e32 v12, s9
	v_add_co_u32_e64 v10, s[0:1], s8, v10
	v_addc_co_u32_e64 v11, s[0:1], v12, v11, s[0:1]
	s_mov_b64 s[6:7], 0
.LBB3_20:                               ; =>This Inner Loop Header: Depth=1
	global_store_dword v[8:9], v0, off
	s_waitcnt lgkmcnt(0)
	global_store_dword v[10:11], v1, off
	v_add_co_u32_e64 v8, s[0:1], 4, v8
	v_add_u32_e32 v6, 1, v6
	v_addc_co_u32_e64 v9, s[0:1], 0, v9, s[0:1]
	v_add_co_u32_e64 v10, s[0:1], 4, v10
	v_cmp_ge_i32_e64 s[2:3], v6, v7
	v_subrev_u32_e32 v1, s15, v1
	s_or_b64 s[6:7], s[2:3], s[6:7]
	v_addc_co_u32_e64 v11, s[0:1], 0, v11, s[0:1]
	s_andn2_b64 exec, exec, s[6:7]
	s_cbranch_execnz .LBB3_20
.LBB3_21:
	s_or_b64 exec, exec, s[10:11]
	s_barrier
	s_and_saveexec_b64 s[0:1], vcc
	s_cbranch_execz .LBB3_24
; %bb.22:
	s_add_i32 s18, s18, 4
	s_mov_b64 s[0:1], 0
	v_mov_b32_e32 v0, 1
	v_mov_b32_e32 v1, s13
	;; [unrolled: 1-line block ×3, first 2 shown]
.LBB3_23:                               ; =>This Inner Loop Header: Depth=1
	v_lshlrev_b64 v[8:9], 1, v[2:3]
	v_add_co_u32_e32 v8, vcc, s12, v8
	v_addc_co_u32_e32 v9, vcc, v1, v9, vcc
	global_load_sshort v3, v[8:9], off
	s_waitcnt vmcnt(0)
	v_lshl_add_u32 v3, v3, 2, s18
	ds_add_rtn_u32 v8, v3, v0
	s_waitcnt lgkmcnt(0)
	v_ashrrev_i32_e32 v9, 31, v8
	v_lshlrev_b64 v[8:9], 2, v[8:9]
	v_add_co_u32_e32 v8, vcc, s4, v8
	v_addc_co_u32_e32 v9, vcc, v6, v9, vcc
	global_store_dword v[8:9], v2, off
	v_add_u32_e32 v2, 1, v2
	v_ashrrev_i32_e32 v3, 31, v2
	v_cmp_le_u64_e32 vcc, v[4:5], v[2:3]
	s_or_b64 s[0:1], vcc, s[0:1]
	s_andn2_b64 exec, exec, s[0:1]
	s_cbranch_execnz .LBB3_23
.LBB3_24:
	s_endpgm
.LBB3_25:
                                        ; implicit-def: $vgpr4_vgpr5
	s_andn2_b64 vcc, exec, s[0:1]
	s_cbranch_vccz .LBB3_2
	s_branch .LBB3_3
	.section	.rodata,"a",@progbits
	.p2align	6, 0x0
	.amdhsa_kernel _ZN4vllm27moe_align_block_size_kernelIsEEvPT_PiS3_S3_S3_iim
		.amdhsa_group_segment_fixed_size 0
		.amdhsa_private_segment_fixed_size 0
		.amdhsa_kernarg_size 312
		.amdhsa_user_sgpr_count 6
		.amdhsa_user_sgpr_private_segment_buffer 1
		.amdhsa_user_sgpr_dispatch_ptr 0
		.amdhsa_user_sgpr_queue_ptr 0
		.amdhsa_user_sgpr_kernarg_segment_ptr 1
		.amdhsa_user_sgpr_dispatch_id 0
		.amdhsa_user_sgpr_flat_scratch_init 0
		.amdhsa_user_sgpr_kernarg_preload_length 0
		.amdhsa_user_sgpr_kernarg_preload_offset 0
		.amdhsa_user_sgpr_private_segment_size 0
		.amdhsa_uses_dynamic_stack 0
		.amdhsa_system_sgpr_private_segment_wavefront_offset 0
		.amdhsa_system_sgpr_workgroup_id_x 1
		.amdhsa_system_sgpr_workgroup_id_y 0
		.amdhsa_system_sgpr_workgroup_id_z 0
		.amdhsa_system_sgpr_workgroup_info 0
		.amdhsa_system_vgpr_workitem_id 0
		.amdhsa_next_free_vgpr 16
		.amdhsa_next_free_sgpr 34
		.amdhsa_accum_offset 16
		.amdhsa_reserve_vcc 1
		.amdhsa_reserve_flat_scratch 0
		.amdhsa_float_round_mode_32 0
		.amdhsa_float_round_mode_16_64 0
		.amdhsa_float_denorm_mode_32 3
		.amdhsa_float_denorm_mode_16_64 3
		.amdhsa_dx10_clamp 1
		.amdhsa_ieee_mode 1
		.amdhsa_fp16_overflow 0
		.amdhsa_tg_split 0
		.amdhsa_exception_fp_ieee_invalid_op 0
		.amdhsa_exception_fp_denorm_src 0
		.amdhsa_exception_fp_ieee_div_zero 0
		.amdhsa_exception_fp_ieee_overflow 0
		.amdhsa_exception_fp_ieee_underflow 0
		.amdhsa_exception_fp_ieee_inexact 0
		.amdhsa_exception_int_div_zero 0
	.end_amdhsa_kernel
	.section	.text._ZN4vllm27moe_align_block_size_kernelIsEEvPT_PiS3_S3_S3_iim,"axG",@progbits,_ZN4vllm27moe_align_block_size_kernelIsEEvPT_PiS3_S3_S3_iim,comdat
.Lfunc_end3:
	.size	_ZN4vllm27moe_align_block_size_kernelIsEEvPT_PiS3_S3_S3_iim, .Lfunc_end3-_ZN4vllm27moe_align_block_size_kernelIsEEvPT_PiS3_S3_S3_iim
                                        ; -- End function
	.section	.AMDGPU.csdata,"",@progbits
; Kernel info:
; codeLenInByte = 2656
; NumSgprs: 38
; NumVgprs: 16
; NumAgprs: 0
; TotalNumVgprs: 16
; ScratchSize: 0
; MemoryBound: 0
; FloatMode: 240
; IeeeMode: 1
; LDSByteSize: 0 bytes/workgroup (compile time only)
; SGPRBlocks: 4
; VGPRBlocks: 1
; NumSGPRsForWavesPerEU: 38
; NumVGPRsForWavesPerEU: 16
; AccumOffset: 16
; Occupancy: 8
; WaveLimiterHint : 0
; COMPUTE_PGM_RSRC2:SCRATCH_EN: 0
; COMPUTE_PGM_RSRC2:USER_SGPR: 6
; COMPUTE_PGM_RSRC2:TRAP_HANDLER: 0
; COMPUTE_PGM_RSRC2:TGID_X_EN: 1
; COMPUTE_PGM_RSRC2:TGID_Y_EN: 0
; COMPUTE_PGM_RSRC2:TGID_Z_EN: 0
; COMPUTE_PGM_RSRC2:TIDIG_COMP_CNT: 0
; COMPUTE_PGM_RSRC3_GFX90A:ACCUM_OFFSET: 3
; COMPUTE_PGM_RSRC3_GFX90A:TG_SPLIT: 0
	.section	.text._ZN4vllm27moe_align_block_size_kernelIiEEvPT_PiS3_S3_S3_iim,"axG",@progbits,_ZN4vllm27moe_align_block_size_kernelIiEEvPT_PiS3_S3_S3_iim,comdat
	.protected	_ZN4vllm27moe_align_block_size_kernelIiEEvPT_PiS3_S3_S3_iim ; -- Begin function _ZN4vllm27moe_align_block_size_kernelIiEEvPT_PiS3_S3_S3_iim
	.globl	_ZN4vllm27moe_align_block_size_kernelIiEEvPT_PiS3_S3_S3_iim
	.p2align	8
	.type	_ZN4vllm27moe_align_block_size_kernelIiEEvPT_PiS3_S3_S3_iim,@function
_ZN4vllm27moe_align_block_size_kernelIiEEvPT_PiS3_S3_S3_iim: ; @_ZN4vllm27moe_align_block_size_kernelIiEEvPT_PiS3_S3_S3_iim
; %bb.0:
	s_load_dword s0, s[4:5], 0x44
	s_load_dwordx2 s[2:3], s[4:5], 0x30
	s_mov_b32 s6, 0
	s_waitcnt lgkmcnt(0)
	s_and_b32 s8, s0, 0xffff
	s_add_u32 s0, s2, s8
	s_addc_u32 s1, s3, 0
	s_add_u32 s9, s0, -1
	s_addc_u32 s7, s1, -1
	s_cmp_lg_u64 s[6:7], 0
	s_mov_b64 s[0:1], -1
	s_cbranch_scc0 .LBB4_25
; %bb.1:
	v_cvt_f32_u32_e32 v1, s8
	v_mov_b32_e32 v2, 0x4f800000
	s_sub_u32 s6, 0, s8
	s_subb_u32 s10, 0, 0
	v_mac_f32_e32 v1, 0, v2
	v_rcp_f32_e32 v1, v1
	v_mul_f32_e32 v1, 0x5f7ffffc, v1
	v_mul_f32_e32 v2, 0x2f800000, v1
	v_trunc_f32_e32 v2, v2
	v_madmk_f32 v1, v2, 0xcf800000, v1
	v_cvt_u32_f32_e32 v2, v2
	v_cvt_u32_f32_e32 v1, v1
	v_readfirstlane_b32 s11, v2
	v_readfirstlane_b32 s12, v1
	s_mul_i32 s13, s6, s11
	s_mul_hi_u32 s15, s6, s12
	s_mul_i32 s14, s10, s12
	s_add_i32 s13, s15, s13
	s_add_i32 s13, s13, s14
	s_mul_i32 s16, s6, s12
	s_mul_hi_u32 s14, s12, s13
	s_mul_i32 s15, s12, s13
	s_mul_hi_u32 s12, s12, s16
	s_add_u32 s12, s12, s15
	s_addc_u32 s14, 0, s14
	s_mul_hi_u32 s17, s11, s16
	s_mul_i32 s16, s11, s16
	s_add_u32 s12, s12, s16
	s_mul_hi_u32 s15, s11, s13
	s_addc_u32 s12, s14, s17
	s_addc_u32 s14, s15, 0
	s_mul_i32 s13, s11, s13
	s_add_u32 s12, s12, s13
	s_addc_u32 s13, 0, s14
	v_add_co_u32_e32 v1, vcc, s12, v1
	s_cmp_lg_u64 vcc, 0
	s_addc_u32 s11, s11, s13
	v_readfirstlane_b32 s13, v1
	s_mul_i32 s12, s6, s11
	s_mul_hi_u32 s14, s6, s13
	s_add_i32 s12, s14, s12
	s_mul_i32 s10, s10, s13
	s_add_i32 s12, s12, s10
	s_mul_i32 s6, s6, s13
	s_mul_hi_u32 s14, s11, s6
	s_mul_i32 s15, s11, s6
	s_mul_i32 s17, s13, s12
	s_mul_hi_u32 s6, s13, s6
	s_mul_hi_u32 s16, s13, s12
	s_add_u32 s6, s6, s17
	s_addc_u32 s13, 0, s16
	s_add_u32 s6, s6, s15
	s_mul_hi_u32 s10, s11, s12
	s_addc_u32 s6, s13, s14
	s_addc_u32 s10, s10, 0
	s_mul_i32 s12, s11, s12
	s_add_u32 s6, s6, s12
	s_addc_u32 s10, 0, s10
	v_add_co_u32_e32 v1, vcc, s6, v1
	s_cmp_lg_u64 vcc, 0
	s_addc_u32 s6, s11, s10
	v_readfirstlane_b32 s12, v1
	s_mul_i32 s11, s9, s6
	s_mul_hi_u32 s13, s9, s12
	s_mul_hi_u32 s10, s9, s6
	s_add_u32 s11, s13, s11
	s_addc_u32 s10, 0, s10
	s_mul_hi_u32 s14, s7, s12
	s_mul_i32 s12, s7, s12
	s_add_u32 s11, s11, s12
	s_mul_hi_u32 s13, s7, s6
	s_addc_u32 s10, s10, s14
	s_addc_u32 s11, s13, 0
	s_mul_i32 s6, s7, s6
	s_add_u32 s6, s10, s6
	s_addc_u32 s10, 0, s11
	s_add_u32 s11, s6, 1
	s_addc_u32 s12, s10, 0
	s_add_u32 s13, s6, 2
	s_mul_i32 s15, s8, s10
	s_mul_hi_u32 s16, s8, s6
	s_addc_u32 s14, s10, 0
	s_add_i32 s16, s16, s15
	s_mul_i32 s15, s8, s6
	v_mov_b32_e32 v1, s15
	v_sub_co_u32_e32 v1, vcc, s9, v1
	s_cmp_lg_u64 vcc, 0
	s_subb_u32 s7, s7, s16
	v_subrev_co_u32_e32 v2, vcc, s8, v1
	s_cmp_lg_u64 vcc, 0
	s_subb_u32 s15, s7, 0
	v_cmp_le_u32_e32 vcc, s8, v2
	s_cmp_eq_u32 s15, 0
	v_cndmask_b32_e64 v2, 0, -1, vcc
	s_cselect_b64 vcc, -1, 0
	v_cndmask_b32_e32 v2, -1, v2, vcc
	v_mov_b32_e32 v3, s11
	v_mov_b32_e32 v4, s13
	v_cmp_ne_u32_e32 vcc, 0, v2
	v_cndmask_b32_e32 v2, v3, v4, vcc
	v_mov_b32_e32 v3, s12
	v_mov_b32_e32 v4, s14
	v_cndmask_b32_e32 v3, v3, v4, vcc
	v_cmp_le_u32_e32 vcc, s8, v1
	s_cmp_eq_u32 s7, 0
	v_cndmask_b32_e64 v1, 0, -1, vcc
	s_cselect_b64 vcc, -1, 0
	v_cndmask_b32_e32 v1, -1, v1, vcc
	v_mov_b32_e32 v4, s10
	v_cmp_ne_u32_e32 vcc, 0, v1
	v_mov_b32_e32 v1, s6
	v_cndmask_b32_e32 v5, v4, v3, vcc
	v_cndmask_b32_e32 v4, v1, v2, vcc
	s_cbranch_execnz .LBB4_3
.LBB4_2:
	v_cvt_f32_u32_e32 v1, s8
	s_sub_i32 s0, 0, s8
	s_mov_b32 s1, 0
	v_rcp_iflag_f32_e32 v1, v1
	v_mul_f32_e32 v1, 0x4f7ffffe, v1
	v_cvt_u32_f32_e32 v1, v1
	v_readfirstlane_b32 s6, v1
	s_mul_i32 s0, s0, s6
	s_mul_hi_u32 s0, s6, s0
	s_add_i32 s6, s6, s0
	s_mul_hi_u32 s0, s9, s6
	s_mul_i32 s7, s0, s8
	s_sub_i32 s7, s9, s7
	s_add_i32 s6, s0, 1
	s_sub_i32 s9, s7, s8
	s_cmp_ge_u32 s7, s8
	s_cselect_b32 s0, s6, s0
	s_cselect_b32 s7, s9, s7
	s_add_i32 s6, s0, 1
	s_cmp_ge_u32 s7, s8
	s_cselect_b32 s0, s6, s0
	v_pk_mov_b32 v[4:5], s[0:1], s[0:1] op_sel:[0,1]
.LBB4_3:
	s_load_dwordx2 s[14:15], s[4:5], 0x28
	s_load_dwordx2 s[12:13], s[4:5], 0x0
	s_waitcnt lgkmcnt(0)
	v_cmp_gt_u32_e64 s[0:1], s14, v0
	s_and_saveexec_b64 s[6:7], s[0:1]
	s_cbranch_execz .LBB4_5
; %bb.4:
	v_lshl_add_u32 v1, v0, 2, 0
	v_mov_b32_e32 v2, 0
	ds_write_b32 v1, v2
.LBB4_5:
	s_or_b64 exec, exec, s[6:7]
	v_mad_u64_u32 v[6:7], s[6:7], v4, v0, v[4:5]
	v_mul_lo_u32 v2, v4, v0
	v_mov_b32_e32 v4, v7
	v_mad_u64_u32 v[4:5], s[6:7], v5, v0, v[4:5]
	v_mov_b32_e32 v7, v4
	v_mov_b32_e32 v1, s3
	v_cmp_lt_u64_e32 vcc, s[2:3], v[6:7]
	v_cndmask_b32_e32 v5, v4, v1, vcc
	v_mov_b32_e32 v1, s2
	v_cndmask_b32_e32 v4, v6, v1, vcc
	v_ashrrev_i32_e32 v3, 31, v2
	v_cmp_lt_u64_e32 vcc, v[2:3], v[4:5]
	s_waitcnt lgkmcnt(0)
	s_barrier
	s_and_saveexec_b64 s[6:7], vcc
	s_cbranch_execz .LBB4_8
; %bb.6:
	s_mov_b64 s[8:9], 0
	v_mov_b32_e32 v1, s13
	v_mov_b32_e32 v8, 1
	v_pk_mov_b32 v[6:7], v[2:3], v[2:3] op_sel:[0,1]
	v_mov_b32_e32 v9, v2
.LBB4_7:                                ; =>This Inner Loop Header: Depth=1
	v_lshlrev_b64 v[6:7], 2, v[6:7]
	v_add_co_u32_e64 v6, s[2:3], s12, v6
	v_addc_co_u32_e64 v7, s[2:3], v1, v7, s[2:3]
	global_load_dword v7, v[6:7], off
	v_add_u32_e32 v6, 1, v9
	v_mov_b32_e32 v9, v6
	s_waitcnt vmcnt(0)
	v_lshl_add_u32 v7, v7, 2, 0
	ds_add_u32 v7, v8
	v_ashrrev_i32_e32 v7, 31, v6
	v_cmp_le_u64_e64 s[2:3], v[4:5], v[6:7]
	s_or_b64 s[8:9], s[2:3], s[8:9]
	s_andn2_b64 exec, exec, s[8:9]
	s_cbranch_execnz .LBB4_7
.LBB4_8:
	s_or_b64 exec, exec, s[6:7]
	s_load_dwordx8 s[4:11], s[4:5], 0x8
	s_lshl_b32 s20, s14, 2
	s_add_i32 s19, s20, 0
	s_add_i32 s18, s19, s20
	v_cmp_eq_u32_e64 s[2:3], 0, v0
	s_waitcnt lgkmcnt(0)
	s_barrier
	s_and_saveexec_b64 s[16:17], s[2:3]
	s_cbranch_execz .LBB4_17
; %bb.9:
	v_mov_b32_e32 v1, 0
	v_mov_b32_e32 v6, s19
	s_cmp_lt_i32 s14, 1
	ds_write_b32 v6, v1
	s_cbranch_scc1 .LBB4_16
; %bb.10:
	s_add_i32 s21, s15, -1
	s_mov_b32 s2, 0
	s_cmp_lt_u32 s14, 8
	s_mov_b32 s27, 0
	s_cbranch_scc1 .LBB4_13
; %bb.11:
	s_abs_i32 s3, s15
	v_cvt_f32_u32_e32 v6, s3
	s_sub_i32 s25, 0, s3
	s_and_b32 s2, s14, 0x7ffffff8
	s_ashr_i32 s22, s15, 31
	v_rcp_iflag_f32_e32 v6, v6
	s_mov_b32 s23, 0
	s_lshl_b32 s24, s14, 3
	v_mul_f32_e32 v6, 0x4f7ffffe, v6
	v_cvt_u32_f32_e32 v6, v6
	v_readfirstlane_b32 s26, v6
	s_mul_i32 s25, s25, s26
	s_mul_hi_u32 s25, s26, s25
	s_add_i32 s25, s26, s25
	s_mov_b32 s26, 0
.LBB4_12:                               ; =>This Inner Loop Header: Depth=1
	v_mov_b32_e32 v6, s23
	ds_read_b32 v7, v6
	s_mul_i32 s28, s27, s15
	v_mov_b32_e32 v9, s28
	s_waitcnt lgkmcnt(0)
	v_readfirstlane_b32 s28, v7
	s_add_i32 s28, s21, s28
	s_ashr_i32 s29, s28, 31
	s_abs_i32 s28, s28
	s_mul_hi_u32 s30, s28, s25
	s_mul_i32 s31, s30, s3
	s_sub_i32 s28, s28, s31
	s_xor_b32 s29, s29, s22
	s_add_i32 s33, s30, 1
	s_sub_i32 s31, s28, s3
	s_cmp_ge_u32 s28, s3
	s_cselect_b32 s30, s33, s30
	s_cselect_b32 s28, s31, s28
	s_add_i32 s31, s30, 1
	s_cmp_ge_u32 s28, s3
	s_cselect_b32 s28, s31, s30
	s_xor_b32 s28, s28, s29
	s_sub_i32 s28, s28, s29
	s_add_i32 s30, s23, s20
	s_add_i32 s27, s27, s28
	;; [unrolled: 1-line block ×3, first 2 shown]
	v_mov_b32_e32 v7, s30
	v_mov_b32_e32 v10, s27
	;; [unrolled: 1-line block ×3, first 2 shown]
	ds_write_b32 v7, v10 offset:4
	ds_write_b32 v8, v9 offset:4
	ds_read_b32 v10, v6 offset:4
	s_mul_i32 s28, s27, s15
	v_mov_b32_e32 v9, s28
	s_waitcnt lgkmcnt(0)
	v_readfirstlane_b32 s28, v10
	s_add_i32 s28, s21, s28
	s_ashr_i32 s29, s28, 31
	s_abs_i32 s28, s28
	s_mul_hi_u32 s30, s28, s25
	s_mul_i32 s31, s30, s3
	s_sub_i32 s28, s28, s31
	s_xor_b32 s29, s29, s22
	s_add_i32 s33, s30, 1
	s_sub_i32 s31, s28, s3
	s_cmp_ge_u32 s28, s3
	s_cselect_b32 s30, s33, s30
	s_cselect_b32 s28, s31, s28
	s_add_i32 s31, s30, 1
	s_cmp_ge_u32 s28, s3
	s_cselect_b32 s28, s31, s30
	s_xor_b32 s28, s28, s29
	s_sub_i32 s28, s28, s29
	s_add_i32 s27, s27, s28
	v_mov_b32_e32 v10, s27
	ds_write_b32 v7, v10 offset:8
	ds_write_b32 v8, v9 offset:8
	ds_read_b32 v10, v6 offset:8
	s_mul_i32 s28, s27, s15
	v_mov_b32_e32 v9, s28
	s_waitcnt lgkmcnt(0)
	v_readfirstlane_b32 s28, v10
	s_add_i32 s28, s21, s28
	s_ashr_i32 s29, s28, 31
	s_abs_i32 s28, s28
	s_mul_hi_u32 s30, s28, s25
	s_mul_i32 s31, s30, s3
	s_sub_i32 s28, s28, s31
	s_xor_b32 s29, s29, s22
	s_add_i32 s33, s30, 1
	s_sub_i32 s31, s28, s3
	s_cmp_ge_u32 s28, s3
	s_cselect_b32 s30, s33, s30
	s_cselect_b32 s28, s31, s28
	s_add_i32 s31, s30, 1
	s_cmp_ge_u32 s28, s3
	s_cselect_b32 s28, s31, s30
	s_xor_b32 s28, s28, s29
	s_sub_i32 s28, s28, s29
	s_add_i32 s27, s27, s28
	v_mov_b32_e32 v10, s27
	;; [unrolled: 26-line block ×6, first 2 shown]
	ds_write_b32 v7, v10 offset:28
	ds_write_b32 v8, v9 offset:28
	ds_read_b32 v6, v6 offset:28
	s_mul_i32 s28, s27, s15
	v_mov_b32_e32 v9, s28
	s_waitcnt lgkmcnt(0)
	v_readfirstlane_b32 s28, v6
	s_add_i32 s28, s21, s28
	s_ashr_i32 s29, s28, 31
	s_abs_i32 s28, s28
	s_mul_hi_u32 s30, s28, s25
	s_mul_i32 s31, s30, s3
	s_sub_i32 s28, s28, s31
	s_xor_b32 s29, s29, s22
	s_add_i32 s33, s30, 1
	s_sub_i32 s31, s28, s3
	s_cmp_ge_u32 s28, s3
	s_cselect_b32 s30, s33, s30
	s_cselect_b32 s28, s31, s28
	s_add_i32 s31, s30, 1
	s_cmp_ge_u32 s28, s3
	s_cselect_b32 s28, s31, s30
	s_xor_b32 s28, s28, s29
	s_sub_i32 s28, s28, s29
	s_add_i32 s26, s26, 8
	s_add_i32 s23, s23, 32
	;; [unrolled: 1-line block ×3, first 2 shown]
	v_mov_b32_e32 v6, s27
	s_cmp_eq_u32 s2, s26
	ds_write_b32 v7, v6 offset:32
	ds_write_b32 v8, v9 offset:32
	s_cbranch_scc0 .LBB4_12
.LBB4_13:
	s_and_b32 s22, s14, 7
	s_cmp_eq_u32 s22, 0
	s_cbranch_scc1 .LBB4_16
; %bb.14:
	s_abs_i32 s23, s15
	v_cvt_f32_u32_e32 v6, s23
	s_sub_i32 s3, 0, s23
	s_lshl_b32 s2, s2, 2
	s_ashr_i32 s24, s15, 31
	v_rcp_iflag_f32_e32 v6, v6
	s_lshl_b32 s14, s14, 3
	s_add_i32 s25, s2, 0
	v_mul_f32_e32 v6, 0x4f7ffffe, v6
	v_cvt_u32_f32_e32 v6, v6
	v_mul_lo_u32 v7, s3, v6
	v_mul_hi_u32 v7, v6, v7
	v_add_u32_e32 v6, v6, v7
	v_mov_b32_e32 v7, s27
.LBB4_15:                               ; =>This Inner Loop Header: Depth=1
	v_mov_b32_e32 v8, s25
	ds_read_b32 v8, v8
	s_add_i32 s2, s25, s20
	s_add_i32 s3, s25, s14
	v_mov_b32_e32 v10, s2
	v_mov_b32_e32 v11, s3
	s_waitcnt lgkmcnt(0)
	v_add_u32_e32 v8, s21, v8
	v_sub_u32_e32 v13, 0, v8
	v_ashrrev_i32_e32 v12, 31, v8
	v_max_i32_e32 v8, v8, v13
	v_mul_hi_u32 v13, v8, v6
	v_mul_lo_u32 v14, v13, s23
	v_sub_u32_e32 v8, v8, v14
	v_add_u32_e32 v15, 1, v13
	v_subrev_u32_e32 v14, s23, v8
	v_cmp_le_u32_e64 s[2:3], s23, v8
	v_cndmask_b32_e64 v13, v13, v15, s[2:3]
	v_cndmask_b32_e64 v8, v8, v14, s[2:3]
	v_add_u32_e32 v14, 1, v13
	v_cmp_le_u32_e64 s[2:3], s23, v8
	v_xor_b32_e32 v12, s24, v12
	v_cndmask_b32_e64 v8, v13, v14, s[2:3]
	v_xor_b32_e32 v8, v8, v12
	s_add_i32 s25, s25, 4
	s_add_i32 s22, s22, -1
	v_sub_u32_e32 v8, v8, v12
	v_mul_lo_u32 v9, v7, s15
	s_cmp_lg_u32 s22, 0
	v_add_u32_e32 v7, v7, v8
	ds_write_b32 v10, v7 offset:4
	ds_write_b32 v11, v9 offset:4
	s_cbranch_scc1 .LBB4_15
.LBB4_16:
	v_mov_b32_e32 v6, s18
	ds_read_b32 v6, v6
	s_waitcnt lgkmcnt(0)
	v_mul_lo_u32 v6, v6, s15
	global_store_dword v1, v6, s[10:11]
.LBB4_17:
	s_or_b64 exec, exec, s[16:17]
	s_barrier
	s_and_saveexec_b64 s[10:11], s[0:1]
	s_cbranch_execz .LBB4_21
; %bb.18:
	v_lshl_add_u32 v1, v0, 2, s19
	ds_read2_b32 v[6:7], v1 offset1:1
	s_waitcnt lgkmcnt(0)
	v_cmp_lt_i32_e64 s[0:1], v6, v7
	s_and_b64 exec, exec, s[0:1]
	s_cbranch_execz .LBB4_21
; %bb.19:
	v_lshl_add_u32 v1, v0, 2, 0
	v_ashrrev_i32_e32 v9, 31, v6
	v_mov_b32_e32 v8, v6
	ds_read_b32 v1, v1
	v_lshlrev_b64 v[10:11], 2, v[8:9]
	v_mov_b32_e32 v9, s7
	v_add_co_u32_e64 v8, s[0:1], s6, v10
	v_addc_co_u32_e64 v9, s[0:1], v9, v11, s[0:1]
	v_mov_b32_e32 v12, s9
	v_add_co_u32_e64 v10, s[0:1], s8, v10
	v_addc_co_u32_e64 v11, s[0:1], v12, v11, s[0:1]
	s_mov_b64 s[6:7], 0
.LBB4_20:                               ; =>This Inner Loop Header: Depth=1
	global_store_dword v[8:9], v0, off
	s_waitcnt lgkmcnt(0)
	global_store_dword v[10:11], v1, off
	v_add_co_u32_e64 v8, s[0:1], 4, v8
	v_add_u32_e32 v6, 1, v6
	v_addc_co_u32_e64 v9, s[0:1], 0, v9, s[0:1]
	v_add_co_u32_e64 v10, s[0:1], 4, v10
	v_cmp_ge_i32_e64 s[2:3], v6, v7
	v_subrev_u32_e32 v1, s15, v1
	s_or_b64 s[6:7], s[2:3], s[6:7]
	v_addc_co_u32_e64 v11, s[0:1], 0, v11, s[0:1]
	s_andn2_b64 exec, exec, s[6:7]
	s_cbranch_execnz .LBB4_20
.LBB4_21:
	s_or_b64 exec, exec, s[10:11]
	s_barrier
	s_and_saveexec_b64 s[0:1], vcc
	s_cbranch_execz .LBB4_24
; %bb.22:
	s_add_i32 s18, s18, 4
	s_mov_b64 s[0:1], 0
	v_mov_b32_e32 v0, s13
	v_mov_b32_e32 v1, 1
	;; [unrolled: 1-line block ×3, first 2 shown]
.LBB4_23:                               ; =>This Inner Loop Header: Depth=1
	v_lshlrev_b64 v[8:9], 2, v[2:3]
	v_add_co_u32_e32 v8, vcc, s12, v8
	v_addc_co_u32_e32 v9, vcc, v0, v9, vcc
	global_load_dword v3, v[8:9], off
	s_waitcnt vmcnt(0)
	v_lshl_add_u32 v3, v3, 2, s18
	ds_add_rtn_u32 v8, v3, v1
	s_waitcnt lgkmcnt(0)
	v_ashrrev_i32_e32 v9, 31, v8
	v_lshlrev_b64 v[8:9], 2, v[8:9]
	v_add_co_u32_e32 v8, vcc, s4, v8
	v_addc_co_u32_e32 v9, vcc, v6, v9, vcc
	global_store_dword v[8:9], v2, off
	v_add_u32_e32 v2, 1, v2
	v_ashrrev_i32_e32 v3, 31, v2
	v_cmp_le_u64_e32 vcc, v[4:5], v[2:3]
	s_or_b64 s[0:1], vcc, s[0:1]
	s_andn2_b64 exec, exec, s[0:1]
	s_cbranch_execnz .LBB4_23
.LBB4_24:
	s_endpgm
.LBB4_25:
                                        ; implicit-def: $vgpr4_vgpr5
	s_andn2_b64 vcc, exec, s[0:1]
	s_cbranch_vccz .LBB4_2
	s_branch .LBB4_3
	.section	.rodata,"a",@progbits
	.p2align	6, 0x0
	.amdhsa_kernel _ZN4vllm27moe_align_block_size_kernelIiEEvPT_PiS3_S3_S3_iim
		.amdhsa_group_segment_fixed_size 0
		.amdhsa_private_segment_fixed_size 0
		.amdhsa_kernarg_size 312
		.amdhsa_user_sgpr_count 6
		.amdhsa_user_sgpr_private_segment_buffer 1
		.amdhsa_user_sgpr_dispatch_ptr 0
		.amdhsa_user_sgpr_queue_ptr 0
		.amdhsa_user_sgpr_kernarg_segment_ptr 1
		.amdhsa_user_sgpr_dispatch_id 0
		.amdhsa_user_sgpr_flat_scratch_init 0
		.amdhsa_user_sgpr_kernarg_preload_length 0
		.amdhsa_user_sgpr_kernarg_preload_offset 0
		.amdhsa_user_sgpr_private_segment_size 0
		.amdhsa_uses_dynamic_stack 0
		.amdhsa_system_sgpr_private_segment_wavefront_offset 0
		.amdhsa_system_sgpr_workgroup_id_x 1
		.amdhsa_system_sgpr_workgroup_id_y 0
		.amdhsa_system_sgpr_workgroup_id_z 0
		.amdhsa_system_sgpr_workgroup_info 0
		.amdhsa_system_vgpr_workitem_id 0
		.amdhsa_next_free_vgpr 16
		.amdhsa_next_free_sgpr 34
		.amdhsa_accum_offset 16
		.amdhsa_reserve_vcc 1
		.amdhsa_reserve_flat_scratch 0
		.amdhsa_float_round_mode_32 0
		.amdhsa_float_round_mode_16_64 0
		.amdhsa_float_denorm_mode_32 3
		.amdhsa_float_denorm_mode_16_64 3
		.amdhsa_dx10_clamp 1
		.amdhsa_ieee_mode 1
		.amdhsa_fp16_overflow 0
		.amdhsa_tg_split 0
		.amdhsa_exception_fp_ieee_invalid_op 0
		.amdhsa_exception_fp_denorm_src 0
		.amdhsa_exception_fp_ieee_div_zero 0
		.amdhsa_exception_fp_ieee_overflow 0
		.amdhsa_exception_fp_ieee_underflow 0
		.amdhsa_exception_fp_ieee_inexact 0
		.amdhsa_exception_int_div_zero 0
	.end_amdhsa_kernel
	.section	.text._ZN4vllm27moe_align_block_size_kernelIiEEvPT_PiS3_S3_S3_iim,"axG",@progbits,_ZN4vllm27moe_align_block_size_kernelIiEEvPT_PiS3_S3_S3_iim,comdat
.Lfunc_end4:
	.size	_ZN4vllm27moe_align_block_size_kernelIiEEvPT_PiS3_S3_S3_iim, .Lfunc_end4-_ZN4vllm27moe_align_block_size_kernelIiEEvPT_PiS3_S3_S3_iim
                                        ; -- End function
	.section	.AMDGPU.csdata,"",@progbits
; Kernel info:
; codeLenInByte = 2656
; NumSgprs: 38
; NumVgprs: 16
; NumAgprs: 0
; TotalNumVgprs: 16
; ScratchSize: 0
; MemoryBound: 0
; FloatMode: 240
; IeeeMode: 1
; LDSByteSize: 0 bytes/workgroup (compile time only)
; SGPRBlocks: 4
; VGPRBlocks: 1
; NumSGPRsForWavesPerEU: 38
; NumVGPRsForWavesPerEU: 16
; AccumOffset: 16
; Occupancy: 8
; WaveLimiterHint : 0
; COMPUTE_PGM_RSRC2:SCRATCH_EN: 0
; COMPUTE_PGM_RSRC2:USER_SGPR: 6
; COMPUTE_PGM_RSRC2:TRAP_HANDLER: 0
; COMPUTE_PGM_RSRC2:TGID_X_EN: 1
; COMPUTE_PGM_RSRC2:TGID_Y_EN: 0
; COMPUTE_PGM_RSRC2:TGID_Z_EN: 0
; COMPUTE_PGM_RSRC2:TIDIG_COMP_CNT: 0
; COMPUTE_PGM_RSRC3_GFX90A:ACCUM_OFFSET: 3
; COMPUTE_PGM_RSRC3_GFX90A:TG_SPLIT: 0
	.section	.text._ZN4vllm27moe_align_block_size_kernelIlEEvPT_PiS3_S3_S3_iim,"axG",@progbits,_ZN4vllm27moe_align_block_size_kernelIlEEvPT_PiS3_S3_S3_iim,comdat
	.protected	_ZN4vllm27moe_align_block_size_kernelIlEEvPT_PiS3_S3_S3_iim ; -- Begin function _ZN4vllm27moe_align_block_size_kernelIlEEvPT_PiS3_S3_S3_iim
	.globl	_ZN4vllm27moe_align_block_size_kernelIlEEvPT_PiS3_S3_S3_iim
	.p2align	8
	.type	_ZN4vllm27moe_align_block_size_kernelIlEEvPT_PiS3_S3_S3_iim,@function
_ZN4vllm27moe_align_block_size_kernelIlEEvPT_PiS3_S3_S3_iim: ; @_ZN4vllm27moe_align_block_size_kernelIlEEvPT_PiS3_S3_S3_iim
; %bb.0:
	s_load_dword s0, s[4:5], 0x44
	s_load_dwordx2 s[2:3], s[4:5], 0x30
	s_mov_b32 s6, 0
	s_waitcnt lgkmcnt(0)
	s_and_b32 s8, s0, 0xffff
	s_add_u32 s0, s2, s8
	s_addc_u32 s1, s3, 0
	s_add_u32 s9, s0, -1
	s_addc_u32 s7, s1, -1
	s_cmp_lg_u64 s[6:7], 0
	s_mov_b64 s[0:1], -1
	s_cbranch_scc0 .LBB5_25
; %bb.1:
	v_cvt_f32_u32_e32 v1, s8
	v_mov_b32_e32 v2, 0x4f800000
	s_sub_u32 s6, 0, s8
	s_subb_u32 s10, 0, 0
	v_mac_f32_e32 v1, 0, v2
	v_rcp_f32_e32 v1, v1
	v_mul_f32_e32 v1, 0x5f7ffffc, v1
	v_mul_f32_e32 v2, 0x2f800000, v1
	v_trunc_f32_e32 v2, v2
	v_madmk_f32 v1, v2, 0xcf800000, v1
	v_cvt_u32_f32_e32 v2, v2
	v_cvt_u32_f32_e32 v1, v1
	v_readfirstlane_b32 s11, v2
	v_readfirstlane_b32 s12, v1
	s_mul_i32 s13, s6, s11
	s_mul_hi_u32 s15, s6, s12
	s_mul_i32 s14, s10, s12
	s_add_i32 s13, s15, s13
	s_add_i32 s13, s13, s14
	s_mul_i32 s16, s6, s12
	s_mul_hi_u32 s14, s12, s13
	s_mul_i32 s15, s12, s13
	s_mul_hi_u32 s12, s12, s16
	s_add_u32 s12, s12, s15
	s_addc_u32 s14, 0, s14
	s_mul_hi_u32 s17, s11, s16
	s_mul_i32 s16, s11, s16
	s_add_u32 s12, s12, s16
	s_mul_hi_u32 s15, s11, s13
	s_addc_u32 s12, s14, s17
	s_addc_u32 s14, s15, 0
	s_mul_i32 s13, s11, s13
	s_add_u32 s12, s12, s13
	s_addc_u32 s13, 0, s14
	v_add_co_u32_e32 v1, vcc, s12, v1
	s_cmp_lg_u64 vcc, 0
	s_addc_u32 s11, s11, s13
	v_readfirstlane_b32 s13, v1
	s_mul_i32 s12, s6, s11
	s_mul_hi_u32 s14, s6, s13
	s_add_i32 s12, s14, s12
	s_mul_i32 s10, s10, s13
	s_add_i32 s12, s12, s10
	s_mul_i32 s6, s6, s13
	s_mul_hi_u32 s14, s11, s6
	s_mul_i32 s15, s11, s6
	s_mul_i32 s17, s13, s12
	s_mul_hi_u32 s6, s13, s6
	s_mul_hi_u32 s16, s13, s12
	s_add_u32 s6, s6, s17
	s_addc_u32 s13, 0, s16
	s_add_u32 s6, s6, s15
	s_mul_hi_u32 s10, s11, s12
	s_addc_u32 s6, s13, s14
	s_addc_u32 s10, s10, 0
	s_mul_i32 s12, s11, s12
	s_add_u32 s6, s6, s12
	s_addc_u32 s10, 0, s10
	v_add_co_u32_e32 v1, vcc, s6, v1
	s_cmp_lg_u64 vcc, 0
	s_addc_u32 s6, s11, s10
	v_readfirstlane_b32 s12, v1
	s_mul_i32 s11, s9, s6
	s_mul_hi_u32 s13, s9, s12
	s_mul_hi_u32 s10, s9, s6
	s_add_u32 s11, s13, s11
	s_addc_u32 s10, 0, s10
	s_mul_hi_u32 s14, s7, s12
	s_mul_i32 s12, s7, s12
	s_add_u32 s11, s11, s12
	s_mul_hi_u32 s13, s7, s6
	s_addc_u32 s10, s10, s14
	s_addc_u32 s11, s13, 0
	s_mul_i32 s6, s7, s6
	s_add_u32 s6, s10, s6
	s_addc_u32 s10, 0, s11
	s_add_u32 s11, s6, 1
	s_addc_u32 s12, s10, 0
	s_add_u32 s13, s6, 2
	s_mul_i32 s15, s8, s10
	s_mul_hi_u32 s16, s8, s6
	s_addc_u32 s14, s10, 0
	s_add_i32 s16, s16, s15
	s_mul_i32 s15, s8, s6
	v_mov_b32_e32 v1, s15
	v_sub_co_u32_e32 v1, vcc, s9, v1
	s_cmp_lg_u64 vcc, 0
	s_subb_u32 s7, s7, s16
	v_subrev_co_u32_e32 v2, vcc, s8, v1
	s_cmp_lg_u64 vcc, 0
	s_subb_u32 s15, s7, 0
	v_cmp_le_u32_e32 vcc, s8, v2
	s_cmp_eq_u32 s15, 0
	v_cndmask_b32_e64 v2, 0, -1, vcc
	s_cselect_b64 vcc, -1, 0
	v_cndmask_b32_e32 v2, -1, v2, vcc
	v_mov_b32_e32 v3, s11
	v_mov_b32_e32 v4, s13
	v_cmp_ne_u32_e32 vcc, 0, v2
	v_cndmask_b32_e32 v2, v3, v4, vcc
	v_mov_b32_e32 v3, s12
	v_mov_b32_e32 v4, s14
	v_cndmask_b32_e32 v3, v3, v4, vcc
	v_cmp_le_u32_e32 vcc, s8, v1
	s_cmp_eq_u32 s7, 0
	v_cndmask_b32_e64 v1, 0, -1, vcc
	s_cselect_b64 vcc, -1, 0
	v_cndmask_b32_e32 v1, -1, v1, vcc
	v_mov_b32_e32 v4, s10
	v_cmp_ne_u32_e32 vcc, 0, v1
	v_mov_b32_e32 v1, s6
	v_cndmask_b32_e32 v5, v4, v3, vcc
	v_cndmask_b32_e32 v4, v1, v2, vcc
	s_cbranch_execnz .LBB5_3
.LBB5_2:
	v_cvt_f32_u32_e32 v1, s8
	s_sub_i32 s0, 0, s8
	s_mov_b32 s1, 0
	v_rcp_iflag_f32_e32 v1, v1
	v_mul_f32_e32 v1, 0x4f7ffffe, v1
	v_cvt_u32_f32_e32 v1, v1
	v_readfirstlane_b32 s6, v1
	s_mul_i32 s0, s0, s6
	s_mul_hi_u32 s0, s6, s0
	s_add_i32 s6, s6, s0
	s_mul_hi_u32 s0, s9, s6
	s_mul_i32 s7, s0, s8
	s_sub_i32 s7, s9, s7
	s_add_i32 s6, s0, 1
	s_sub_i32 s9, s7, s8
	s_cmp_ge_u32 s7, s8
	s_cselect_b32 s0, s6, s0
	s_cselect_b32 s7, s9, s7
	s_add_i32 s6, s0, 1
	s_cmp_ge_u32 s7, s8
	s_cselect_b32 s0, s6, s0
	v_pk_mov_b32 v[4:5], s[0:1], s[0:1] op_sel:[0,1]
.LBB5_3:
	s_load_dwordx2 s[14:15], s[4:5], 0x28
	s_load_dwordx2 s[12:13], s[4:5], 0x0
	s_waitcnt lgkmcnt(0)
	v_cmp_gt_u32_e64 s[0:1], s14, v0
	s_and_saveexec_b64 s[6:7], s[0:1]
	s_cbranch_execz .LBB5_5
; %bb.4:
	v_lshl_add_u32 v1, v0, 2, 0
	v_mov_b32_e32 v2, 0
	ds_write_b32 v1, v2
.LBB5_5:
	s_or_b64 exec, exec, s[6:7]
	v_mad_u64_u32 v[6:7], s[6:7], v4, v0, v[4:5]
	v_mul_lo_u32 v2, v4, v0
	v_mov_b32_e32 v4, v7
	v_mad_u64_u32 v[4:5], s[6:7], v5, v0, v[4:5]
	v_mov_b32_e32 v7, v4
	v_mov_b32_e32 v1, s3
	v_cmp_lt_u64_e32 vcc, s[2:3], v[6:7]
	v_cndmask_b32_e32 v5, v4, v1, vcc
	v_mov_b32_e32 v1, s2
	v_cndmask_b32_e32 v4, v6, v1, vcc
	v_ashrrev_i32_e32 v3, 31, v2
	v_cmp_lt_u64_e32 vcc, v[2:3], v[4:5]
	s_waitcnt lgkmcnt(0)
	s_barrier
	s_and_saveexec_b64 s[6:7], vcc
	s_cbranch_execz .LBB5_8
; %bb.6:
	s_mov_b64 s[8:9], 0
	v_mov_b32_e32 v1, s13
	v_mov_b32_e32 v8, 1
	v_pk_mov_b32 v[6:7], v[2:3], v[2:3] op_sel:[0,1]
	v_mov_b32_e32 v9, v2
.LBB5_7:                                ; =>This Inner Loop Header: Depth=1
	v_lshlrev_b64 v[6:7], 3, v[6:7]
	v_add_co_u32_e64 v6, s[2:3], s12, v6
	v_addc_co_u32_e64 v7, s[2:3], v1, v7, s[2:3]
	global_load_dword v7, v[6:7], off
	v_add_u32_e32 v6, 1, v9
	v_mov_b32_e32 v9, v6
	s_waitcnt vmcnt(0)
	v_lshl_add_u32 v7, v7, 2, 0
	ds_add_u32 v7, v8
	v_ashrrev_i32_e32 v7, 31, v6
	v_cmp_le_u64_e64 s[2:3], v[4:5], v[6:7]
	s_or_b64 s[8:9], s[2:3], s[8:9]
	s_andn2_b64 exec, exec, s[8:9]
	s_cbranch_execnz .LBB5_7
.LBB5_8:
	s_or_b64 exec, exec, s[6:7]
	s_load_dwordx8 s[4:11], s[4:5], 0x8
	s_lshl_b32 s20, s14, 2
	s_add_i32 s19, s20, 0
	s_add_i32 s18, s19, s20
	v_cmp_eq_u32_e64 s[2:3], 0, v0
	s_waitcnt lgkmcnt(0)
	s_barrier
	s_and_saveexec_b64 s[16:17], s[2:3]
	s_cbranch_execz .LBB5_17
; %bb.9:
	v_mov_b32_e32 v1, 0
	v_mov_b32_e32 v6, s19
	s_cmp_lt_i32 s14, 1
	ds_write_b32 v6, v1
	s_cbranch_scc1 .LBB5_16
; %bb.10:
	s_add_i32 s21, s15, -1
	s_mov_b32 s2, 0
	s_cmp_lt_u32 s14, 8
	s_mov_b32 s27, 0
	s_cbranch_scc1 .LBB5_13
; %bb.11:
	s_abs_i32 s3, s15
	v_cvt_f32_u32_e32 v6, s3
	s_sub_i32 s25, 0, s3
	s_and_b32 s2, s14, 0x7ffffff8
	s_ashr_i32 s22, s15, 31
	v_rcp_iflag_f32_e32 v6, v6
	s_mov_b32 s23, 0
	s_lshl_b32 s24, s14, 3
	v_mul_f32_e32 v6, 0x4f7ffffe, v6
	v_cvt_u32_f32_e32 v6, v6
	v_readfirstlane_b32 s26, v6
	s_mul_i32 s25, s25, s26
	s_mul_hi_u32 s25, s26, s25
	s_add_i32 s25, s26, s25
	s_mov_b32 s26, 0
.LBB5_12:                               ; =>This Inner Loop Header: Depth=1
	v_mov_b32_e32 v6, s23
	ds_read_b32 v7, v6
	s_mul_i32 s28, s27, s15
	v_mov_b32_e32 v9, s28
	s_waitcnt lgkmcnt(0)
	v_readfirstlane_b32 s28, v7
	s_add_i32 s28, s21, s28
	s_ashr_i32 s29, s28, 31
	s_abs_i32 s28, s28
	s_mul_hi_u32 s30, s28, s25
	s_mul_i32 s31, s30, s3
	s_sub_i32 s28, s28, s31
	s_xor_b32 s29, s29, s22
	s_add_i32 s33, s30, 1
	s_sub_i32 s31, s28, s3
	s_cmp_ge_u32 s28, s3
	s_cselect_b32 s30, s33, s30
	s_cselect_b32 s28, s31, s28
	s_add_i32 s31, s30, 1
	s_cmp_ge_u32 s28, s3
	s_cselect_b32 s28, s31, s30
	s_xor_b32 s28, s28, s29
	s_sub_i32 s28, s28, s29
	s_add_i32 s30, s23, s20
	s_add_i32 s27, s27, s28
	;; [unrolled: 1-line block ×3, first 2 shown]
	v_mov_b32_e32 v7, s30
	v_mov_b32_e32 v10, s27
	v_mov_b32_e32 v8, s31
	ds_write_b32 v7, v10 offset:4
	ds_write_b32 v8, v9 offset:4
	ds_read_b32 v10, v6 offset:4
	s_mul_i32 s28, s27, s15
	v_mov_b32_e32 v9, s28
	s_waitcnt lgkmcnt(0)
	v_readfirstlane_b32 s28, v10
	s_add_i32 s28, s21, s28
	s_ashr_i32 s29, s28, 31
	s_abs_i32 s28, s28
	s_mul_hi_u32 s30, s28, s25
	s_mul_i32 s31, s30, s3
	s_sub_i32 s28, s28, s31
	s_xor_b32 s29, s29, s22
	s_add_i32 s33, s30, 1
	s_sub_i32 s31, s28, s3
	s_cmp_ge_u32 s28, s3
	s_cselect_b32 s30, s33, s30
	s_cselect_b32 s28, s31, s28
	s_add_i32 s31, s30, 1
	s_cmp_ge_u32 s28, s3
	s_cselect_b32 s28, s31, s30
	s_xor_b32 s28, s28, s29
	s_sub_i32 s28, s28, s29
	s_add_i32 s27, s27, s28
	v_mov_b32_e32 v10, s27
	ds_write_b32 v7, v10 offset:8
	ds_write_b32 v8, v9 offset:8
	ds_read_b32 v10, v6 offset:8
	s_mul_i32 s28, s27, s15
	v_mov_b32_e32 v9, s28
	s_waitcnt lgkmcnt(0)
	v_readfirstlane_b32 s28, v10
	s_add_i32 s28, s21, s28
	s_ashr_i32 s29, s28, 31
	s_abs_i32 s28, s28
	s_mul_hi_u32 s30, s28, s25
	s_mul_i32 s31, s30, s3
	s_sub_i32 s28, s28, s31
	s_xor_b32 s29, s29, s22
	s_add_i32 s33, s30, 1
	s_sub_i32 s31, s28, s3
	s_cmp_ge_u32 s28, s3
	s_cselect_b32 s30, s33, s30
	s_cselect_b32 s28, s31, s28
	s_add_i32 s31, s30, 1
	s_cmp_ge_u32 s28, s3
	s_cselect_b32 s28, s31, s30
	s_xor_b32 s28, s28, s29
	s_sub_i32 s28, s28, s29
	s_add_i32 s27, s27, s28
	v_mov_b32_e32 v10, s27
	;; [unrolled: 26-line block ×6, first 2 shown]
	ds_write_b32 v7, v10 offset:28
	ds_write_b32 v8, v9 offset:28
	ds_read_b32 v6, v6 offset:28
	s_mul_i32 s28, s27, s15
	v_mov_b32_e32 v9, s28
	s_waitcnt lgkmcnt(0)
	v_readfirstlane_b32 s28, v6
	s_add_i32 s28, s21, s28
	s_ashr_i32 s29, s28, 31
	s_abs_i32 s28, s28
	s_mul_hi_u32 s30, s28, s25
	s_mul_i32 s31, s30, s3
	s_sub_i32 s28, s28, s31
	s_xor_b32 s29, s29, s22
	s_add_i32 s33, s30, 1
	s_sub_i32 s31, s28, s3
	s_cmp_ge_u32 s28, s3
	s_cselect_b32 s30, s33, s30
	s_cselect_b32 s28, s31, s28
	s_add_i32 s31, s30, 1
	s_cmp_ge_u32 s28, s3
	s_cselect_b32 s28, s31, s30
	s_xor_b32 s28, s28, s29
	s_sub_i32 s28, s28, s29
	s_add_i32 s26, s26, 8
	s_add_i32 s23, s23, 32
	;; [unrolled: 1-line block ×3, first 2 shown]
	v_mov_b32_e32 v6, s27
	s_cmp_eq_u32 s2, s26
	ds_write_b32 v7, v6 offset:32
	ds_write_b32 v8, v9 offset:32
	s_cbranch_scc0 .LBB5_12
.LBB5_13:
	s_and_b32 s22, s14, 7
	s_cmp_eq_u32 s22, 0
	s_cbranch_scc1 .LBB5_16
; %bb.14:
	s_abs_i32 s23, s15
	v_cvt_f32_u32_e32 v6, s23
	s_sub_i32 s3, 0, s23
	s_lshl_b32 s2, s2, 2
	s_ashr_i32 s24, s15, 31
	v_rcp_iflag_f32_e32 v6, v6
	s_lshl_b32 s14, s14, 3
	s_add_i32 s25, s2, 0
	v_mul_f32_e32 v6, 0x4f7ffffe, v6
	v_cvt_u32_f32_e32 v6, v6
	v_mul_lo_u32 v7, s3, v6
	v_mul_hi_u32 v7, v6, v7
	v_add_u32_e32 v6, v6, v7
	v_mov_b32_e32 v7, s27
.LBB5_15:                               ; =>This Inner Loop Header: Depth=1
	v_mov_b32_e32 v8, s25
	ds_read_b32 v8, v8
	s_add_i32 s2, s25, s20
	s_add_i32 s3, s25, s14
	v_mov_b32_e32 v10, s2
	v_mov_b32_e32 v11, s3
	s_waitcnt lgkmcnt(0)
	v_add_u32_e32 v8, s21, v8
	v_sub_u32_e32 v13, 0, v8
	v_ashrrev_i32_e32 v12, 31, v8
	v_max_i32_e32 v8, v8, v13
	v_mul_hi_u32 v13, v8, v6
	v_mul_lo_u32 v14, v13, s23
	v_sub_u32_e32 v8, v8, v14
	v_add_u32_e32 v15, 1, v13
	v_subrev_u32_e32 v14, s23, v8
	v_cmp_le_u32_e64 s[2:3], s23, v8
	v_cndmask_b32_e64 v13, v13, v15, s[2:3]
	v_cndmask_b32_e64 v8, v8, v14, s[2:3]
	v_add_u32_e32 v14, 1, v13
	v_cmp_le_u32_e64 s[2:3], s23, v8
	v_xor_b32_e32 v12, s24, v12
	v_cndmask_b32_e64 v8, v13, v14, s[2:3]
	v_xor_b32_e32 v8, v8, v12
	s_add_i32 s25, s25, 4
	s_add_i32 s22, s22, -1
	v_sub_u32_e32 v8, v8, v12
	v_mul_lo_u32 v9, v7, s15
	s_cmp_lg_u32 s22, 0
	v_add_u32_e32 v7, v7, v8
	ds_write_b32 v10, v7 offset:4
	ds_write_b32 v11, v9 offset:4
	s_cbranch_scc1 .LBB5_15
.LBB5_16:
	v_mov_b32_e32 v6, s18
	ds_read_b32 v6, v6
	s_waitcnt lgkmcnt(0)
	v_mul_lo_u32 v6, v6, s15
	global_store_dword v1, v6, s[10:11]
.LBB5_17:
	s_or_b64 exec, exec, s[16:17]
	s_barrier
	s_and_saveexec_b64 s[10:11], s[0:1]
	s_cbranch_execz .LBB5_21
; %bb.18:
	v_lshl_add_u32 v1, v0, 2, s19
	ds_read2_b32 v[6:7], v1 offset1:1
	s_waitcnt lgkmcnt(0)
	v_cmp_lt_i32_e64 s[0:1], v6, v7
	s_and_b64 exec, exec, s[0:1]
	s_cbranch_execz .LBB5_21
; %bb.19:
	v_lshl_add_u32 v1, v0, 2, 0
	v_ashrrev_i32_e32 v9, 31, v6
	v_mov_b32_e32 v8, v6
	ds_read_b32 v1, v1
	v_lshlrev_b64 v[10:11], 2, v[8:9]
	v_mov_b32_e32 v9, s7
	v_add_co_u32_e64 v8, s[0:1], s6, v10
	v_addc_co_u32_e64 v9, s[0:1], v9, v11, s[0:1]
	v_mov_b32_e32 v12, s9
	v_add_co_u32_e64 v10, s[0:1], s8, v10
	v_addc_co_u32_e64 v11, s[0:1], v12, v11, s[0:1]
	s_mov_b64 s[6:7], 0
.LBB5_20:                               ; =>This Inner Loop Header: Depth=1
	global_store_dword v[8:9], v0, off
	s_waitcnt lgkmcnt(0)
	global_store_dword v[10:11], v1, off
	v_add_co_u32_e64 v8, s[0:1], 4, v8
	v_add_u32_e32 v6, 1, v6
	v_addc_co_u32_e64 v9, s[0:1], 0, v9, s[0:1]
	v_add_co_u32_e64 v10, s[0:1], 4, v10
	v_cmp_ge_i32_e64 s[2:3], v6, v7
	v_subrev_u32_e32 v1, s15, v1
	s_or_b64 s[6:7], s[2:3], s[6:7]
	v_addc_co_u32_e64 v11, s[0:1], 0, v11, s[0:1]
	s_andn2_b64 exec, exec, s[6:7]
	s_cbranch_execnz .LBB5_20
.LBB5_21:
	s_or_b64 exec, exec, s[10:11]
	s_barrier
	s_and_saveexec_b64 s[0:1], vcc
	s_cbranch_execz .LBB5_24
; %bb.22:
	s_mov_b64 s[0:1], 0
	v_mov_b32_e32 v0, s13
	v_mov_b32_e32 v1, 1
	;; [unrolled: 1-line block ×3, first 2 shown]
.LBB5_23:                               ; =>This Inner Loop Header: Depth=1
	v_lshlrev_b64 v[8:9], 3, v[2:3]
	v_add_co_u32_e32 v8, vcc, s12, v8
	v_addc_co_u32_e32 v9, vcc, v0, v9, vcc
	global_load_dword v3, v[8:9], off
	s_waitcnt vmcnt(0)
	v_lshl_add_u32 v3, v3, 2, s18
	ds_add_rtn_u32 v8, v3, v1 offset:4
	s_waitcnt lgkmcnt(0)
	v_ashrrev_i32_e32 v9, 31, v8
	v_lshlrev_b64 v[8:9], 2, v[8:9]
	v_add_co_u32_e32 v8, vcc, s4, v8
	v_addc_co_u32_e32 v9, vcc, v6, v9, vcc
	global_store_dword v[8:9], v2, off
	v_add_u32_e32 v2, 1, v2
	v_ashrrev_i32_e32 v3, 31, v2
	v_cmp_le_u64_e32 vcc, v[4:5], v[2:3]
	s_or_b64 s[0:1], vcc, s[0:1]
	s_andn2_b64 exec, exec, s[0:1]
	s_cbranch_execnz .LBB5_23
.LBB5_24:
	s_endpgm
.LBB5_25:
                                        ; implicit-def: $vgpr4_vgpr5
	s_andn2_b64 vcc, exec, s[0:1]
	s_cbranch_vccz .LBB5_2
	s_branch .LBB5_3
	.section	.rodata,"a",@progbits
	.p2align	6, 0x0
	.amdhsa_kernel _ZN4vllm27moe_align_block_size_kernelIlEEvPT_PiS3_S3_S3_iim
		.amdhsa_group_segment_fixed_size 0
		.amdhsa_private_segment_fixed_size 0
		.amdhsa_kernarg_size 312
		.amdhsa_user_sgpr_count 6
		.amdhsa_user_sgpr_private_segment_buffer 1
		.amdhsa_user_sgpr_dispatch_ptr 0
		.amdhsa_user_sgpr_queue_ptr 0
		.amdhsa_user_sgpr_kernarg_segment_ptr 1
		.amdhsa_user_sgpr_dispatch_id 0
		.amdhsa_user_sgpr_flat_scratch_init 0
		.amdhsa_user_sgpr_kernarg_preload_length 0
		.amdhsa_user_sgpr_kernarg_preload_offset 0
		.amdhsa_user_sgpr_private_segment_size 0
		.amdhsa_uses_dynamic_stack 0
		.amdhsa_system_sgpr_private_segment_wavefront_offset 0
		.amdhsa_system_sgpr_workgroup_id_x 1
		.amdhsa_system_sgpr_workgroup_id_y 0
		.amdhsa_system_sgpr_workgroup_id_z 0
		.amdhsa_system_sgpr_workgroup_info 0
		.amdhsa_system_vgpr_workitem_id 0
		.amdhsa_next_free_vgpr 16
		.amdhsa_next_free_sgpr 34
		.amdhsa_accum_offset 16
		.amdhsa_reserve_vcc 1
		.amdhsa_reserve_flat_scratch 0
		.amdhsa_float_round_mode_32 0
		.amdhsa_float_round_mode_16_64 0
		.amdhsa_float_denorm_mode_32 3
		.amdhsa_float_denorm_mode_16_64 3
		.amdhsa_dx10_clamp 1
		.amdhsa_ieee_mode 1
		.amdhsa_fp16_overflow 0
		.amdhsa_tg_split 0
		.amdhsa_exception_fp_ieee_invalid_op 0
		.amdhsa_exception_fp_denorm_src 0
		.amdhsa_exception_fp_ieee_div_zero 0
		.amdhsa_exception_fp_ieee_overflow 0
		.amdhsa_exception_fp_ieee_underflow 0
		.amdhsa_exception_fp_ieee_inexact 0
		.amdhsa_exception_int_div_zero 0
	.end_amdhsa_kernel
	.section	.text._ZN4vllm27moe_align_block_size_kernelIlEEvPT_PiS3_S3_S3_iim,"axG",@progbits,_ZN4vllm27moe_align_block_size_kernelIlEEvPT_PiS3_S3_S3_iim,comdat
.Lfunc_end5:
	.size	_ZN4vllm27moe_align_block_size_kernelIlEEvPT_PiS3_S3_S3_iim, .Lfunc_end5-_ZN4vllm27moe_align_block_size_kernelIlEEvPT_PiS3_S3_S3_iim
                                        ; -- End function
	.section	.AMDGPU.csdata,"",@progbits
; Kernel info:
; codeLenInByte = 2652
; NumSgprs: 38
; NumVgprs: 16
; NumAgprs: 0
; TotalNumVgprs: 16
; ScratchSize: 0
; MemoryBound: 0
; FloatMode: 240
; IeeeMode: 1
; LDSByteSize: 0 bytes/workgroup (compile time only)
; SGPRBlocks: 4
; VGPRBlocks: 1
; NumSGPRsForWavesPerEU: 38
; NumVGPRsForWavesPerEU: 16
; AccumOffset: 16
; Occupancy: 8
; WaveLimiterHint : 0
; COMPUTE_PGM_RSRC2:SCRATCH_EN: 0
; COMPUTE_PGM_RSRC2:USER_SGPR: 6
; COMPUTE_PGM_RSRC2:TRAP_HANDLER: 0
; COMPUTE_PGM_RSRC2:TGID_X_EN: 1
; COMPUTE_PGM_RSRC2:TGID_Y_EN: 0
; COMPUTE_PGM_RSRC2:TGID_Z_EN: 0
; COMPUTE_PGM_RSRC2:TIDIG_COMP_CNT: 0
; COMPUTE_PGM_RSRC3_GFX90A:ACCUM_OFFSET: 3
; COMPUTE_PGM_RSRC3_GFX90A:TG_SPLIT: 0
	.text
	.p2alignl 6, 3212836864
	.fill 256, 4, 3212836864
	.type	__hip_cuid_6951cbfb84c501cb,@object ; @__hip_cuid_6951cbfb84c501cb
	.section	.bss,"aw",@nobits
	.globl	__hip_cuid_6951cbfb84c501cb
__hip_cuid_6951cbfb84c501cb:
	.byte	0                               ; 0x0
	.size	__hip_cuid_6951cbfb84c501cb, 1

	.ident	"AMD clang version 19.0.0git (https://github.com/RadeonOpenCompute/llvm-project roc-6.4.0 25133 c7fe45cf4b819c5991fe208aaa96edf142730f1d)"
	.section	".note.GNU-stack","",@progbits
	.addrsig
	.addrsig_sym _ZN4vllm10shared_memE
	.addrsig_sym __hip_cuid_6951cbfb84c501cb
	.amdgpu_metadata
---
amdhsa.kernels:
  - .agpr_count:     0
    .args:           []
    .group_segment_fixed_size: 0
    .kernarg_segment_align: 4
    .kernarg_segment_size: 0
    .language:       OpenCL C
    .language_version:
      - 2
      - 0
    .max_flat_workgroup_size: 1024
    .name:           _ZN7ck_tileL11flush_cacheEv
    .private_segment_fixed_size: 0
    .sgpr_count:     4
    .sgpr_spill_count: 0
    .symbol:         _ZN7ck_tileL11flush_cacheEv.kd
    .uniform_work_group_size: 1
    .uses_dynamic_stack: false
    .vgpr_count:     0
    .vgpr_spill_count: 0
    .wavefront_size: 64
  - .agpr_count:     0
    .args:
      - .actual_access:  read_only
        .address_space:  global
        .offset:         0
        .size:           8
        .value_kind:     global_buffer
      - .address_space:  global
        .offset:         8
        .size:           8
        .value_kind:     global_buffer
      - .address_space:  global
        .offset:         16
        .size:           8
        .value_kind:     global_buffer
      - .address_space:  global
        .offset:         24
        .size:           8
        .value_kind:     global_buffer
      - .address_space:  global
        .offset:         32
        .size:           8
        .value_kind:     global_buffer
      - .offset:         40
        .size:           4
        .value_kind:     by_value
      - .offset:         44
        .size:           4
        .value_kind:     by_value
      - .offset:         48
        .size:           8
        .value_kind:     by_value
      - .offset:         56
        .size:           4
        .value_kind:     hidden_block_count_x
      - .offset:         60
        .size:           4
        .value_kind:     hidden_block_count_y
      - .offset:         64
        .size:           4
        .value_kind:     hidden_block_count_z
      - .offset:         68
        .size:           2
        .value_kind:     hidden_group_size_x
      - .offset:         70
        .size:           2
        .value_kind:     hidden_group_size_y
      - .offset:         72
        .size:           2
        .value_kind:     hidden_group_size_z
      - .offset:         74
        .size:           2
        .value_kind:     hidden_remainder_x
      - .offset:         76
        .size:           2
        .value_kind:     hidden_remainder_y
      - .offset:         78
        .size:           2
        .value_kind:     hidden_remainder_z
      - .offset:         96
        .size:           8
        .value_kind:     hidden_global_offset_x
      - .offset:         104
        .size:           8
        .value_kind:     hidden_global_offset_y
      - .offset:         112
        .size:           8
        .value_kind:     hidden_global_offset_z
      - .offset:         120
        .size:           2
        .value_kind:     hidden_grid_dims
      - .offset:         176
        .size:           4
        .value_kind:     hidden_dynamic_lds_size
    .group_segment_fixed_size: 0
    .kernarg_segment_align: 8
    .kernarg_segment_size: 312
    .language:       OpenCL C
    .language_version:
      - 2
      - 0
    .max_flat_workgroup_size: 1024
    .name:           _ZN4vllm27moe_align_block_size_kernelIhEEvPT_PiS3_S3_S3_iim
    .private_segment_fixed_size: 0
    .sgpr_count:     38
    .sgpr_spill_count: 0
    .symbol:         _ZN4vllm27moe_align_block_size_kernelIhEEvPT_PiS3_S3_S3_iim.kd
    .uniform_work_group_size: 1
    .uses_dynamic_stack: false
    .vgpr_count:     16
    .vgpr_spill_count: 0
    .wavefront_size: 64
  - .agpr_count:     0
    .args:
      - .actual_access:  read_only
        .address_space:  global
        .offset:         0
        .size:           8
        .value_kind:     global_buffer
      - .address_space:  global
        .offset:         8
        .size:           8
        .value_kind:     global_buffer
      - .address_space:  global
        .offset:         16
        .size:           8
        .value_kind:     global_buffer
      - .address_space:  global
        .offset:         24
        .size:           8
        .value_kind:     global_buffer
      - .address_space:  global
        .offset:         32
        .size:           8
        .value_kind:     global_buffer
      - .offset:         40
        .size:           4
        .value_kind:     by_value
      - .offset:         44
        .size:           4
        .value_kind:     by_value
      - .offset:         48
        .size:           8
        .value_kind:     by_value
      - .offset:         56
        .size:           4
        .value_kind:     hidden_block_count_x
      - .offset:         60
        .size:           4
        .value_kind:     hidden_block_count_y
      - .offset:         64
        .size:           4
        .value_kind:     hidden_block_count_z
      - .offset:         68
        .size:           2
        .value_kind:     hidden_group_size_x
      - .offset:         70
        .size:           2
        .value_kind:     hidden_group_size_y
      - .offset:         72
        .size:           2
        .value_kind:     hidden_group_size_z
      - .offset:         74
        .size:           2
        .value_kind:     hidden_remainder_x
      - .offset:         76
        .size:           2
        .value_kind:     hidden_remainder_y
      - .offset:         78
        .size:           2
        .value_kind:     hidden_remainder_z
      - .offset:         96
        .size:           8
        .value_kind:     hidden_global_offset_x
      - .offset:         104
        .size:           8
        .value_kind:     hidden_global_offset_y
      - .offset:         112
        .size:           8
        .value_kind:     hidden_global_offset_z
      - .offset:         120
        .size:           2
        .value_kind:     hidden_grid_dims
      - .offset:         176
        .size:           4
        .value_kind:     hidden_dynamic_lds_size
    .group_segment_fixed_size: 0
    .kernarg_segment_align: 8
    .kernarg_segment_size: 312
    .language:       OpenCL C
    .language_version:
      - 2
      - 0
    .max_flat_workgroup_size: 1024
    .name:           _ZN4vllm27moe_align_block_size_kernelIaEEvPT_PiS3_S3_S3_iim
    .private_segment_fixed_size: 0
    .sgpr_count:     38
    .sgpr_spill_count: 0
    .symbol:         _ZN4vllm27moe_align_block_size_kernelIaEEvPT_PiS3_S3_S3_iim.kd
    .uniform_work_group_size: 1
    .uses_dynamic_stack: false
    .vgpr_count:     16
    .vgpr_spill_count: 0
    .wavefront_size: 64
  - .agpr_count:     0
    .args:
      - .actual_access:  read_only
        .address_space:  global
        .offset:         0
        .size:           8
        .value_kind:     global_buffer
      - .address_space:  global
        .offset:         8
        .size:           8
        .value_kind:     global_buffer
      - .address_space:  global
        .offset:         16
        .size:           8
        .value_kind:     global_buffer
      - .address_space:  global
        .offset:         24
        .size:           8
        .value_kind:     global_buffer
      - .address_space:  global
        .offset:         32
        .size:           8
        .value_kind:     global_buffer
      - .offset:         40
        .size:           4
        .value_kind:     by_value
      - .offset:         44
        .size:           4
        .value_kind:     by_value
      - .offset:         48
        .size:           8
        .value_kind:     by_value
      - .offset:         56
        .size:           4
        .value_kind:     hidden_block_count_x
      - .offset:         60
        .size:           4
        .value_kind:     hidden_block_count_y
      - .offset:         64
        .size:           4
        .value_kind:     hidden_block_count_z
      - .offset:         68
        .size:           2
        .value_kind:     hidden_group_size_x
      - .offset:         70
        .size:           2
        .value_kind:     hidden_group_size_y
      - .offset:         72
        .size:           2
        .value_kind:     hidden_group_size_z
      - .offset:         74
        .size:           2
        .value_kind:     hidden_remainder_x
      - .offset:         76
        .size:           2
        .value_kind:     hidden_remainder_y
      - .offset:         78
        .size:           2
        .value_kind:     hidden_remainder_z
      - .offset:         96
        .size:           8
        .value_kind:     hidden_global_offset_x
      - .offset:         104
        .size:           8
        .value_kind:     hidden_global_offset_y
      - .offset:         112
        .size:           8
        .value_kind:     hidden_global_offset_z
      - .offset:         120
        .size:           2
        .value_kind:     hidden_grid_dims
      - .offset:         176
        .size:           4
        .value_kind:     hidden_dynamic_lds_size
    .group_segment_fixed_size: 0
    .kernarg_segment_align: 8
    .kernarg_segment_size: 312
    .language:       OpenCL C
    .language_version:
      - 2
      - 0
    .max_flat_workgroup_size: 1024
    .name:           _ZN4vllm27moe_align_block_size_kernelIsEEvPT_PiS3_S3_S3_iim
    .private_segment_fixed_size: 0
    .sgpr_count:     38
    .sgpr_spill_count: 0
    .symbol:         _ZN4vllm27moe_align_block_size_kernelIsEEvPT_PiS3_S3_S3_iim.kd
    .uniform_work_group_size: 1
    .uses_dynamic_stack: false
    .vgpr_count:     16
    .vgpr_spill_count: 0
    .wavefront_size: 64
  - .agpr_count:     0
    .args:
      - .actual_access:  read_only
        .address_space:  global
        .offset:         0
        .size:           8
        .value_kind:     global_buffer
      - .address_space:  global
        .offset:         8
        .size:           8
        .value_kind:     global_buffer
      - .address_space:  global
        .offset:         16
        .size:           8
        .value_kind:     global_buffer
      - .address_space:  global
        .offset:         24
        .size:           8
        .value_kind:     global_buffer
      - .address_space:  global
        .offset:         32
        .size:           8
        .value_kind:     global_buffer
      - .offset:         40
        .size:           4
        .value_kind:     by_value
      - .offset:         44
        .size:           4
        .value_kind:     by_value
      - .offset:         48
        .size:           8
        .value_kind:     by_value
      - .offset:         56
        .size:           4
        .value_kind:     hidden_block_count_x
      - .offset:         60
        .size:           4
        .value_kind:     hidden_block_count_y
      - .offset:         64
        .size:           4
        .value_kind:     hidden_block_count_z
      - .offset:         68
        .size:           2
        .value_kind:     hidden_group_size_x
      - .offset:         70
        .size:           2
        .value_kind:     hidden_group_size_y
      - .offset:         72
        .size:           2
        .value_kind:     hidden_group_size_z
      - .offset:         74
        .size:           2
        .value_kind:     hidden_remainder_x
      - .offset:         76
        .size:           2
        .value_kind:     hidden_remainder_y
      - .offset:         78
        .size:           2
        .value_kind:     hidden_remainder_z
      - .offset:         96
        .size:           8
        .value_kind:     hidden_global_offset_x
      - .offset:         104
        .size:           8
        .value_kind:     hidden_global_offset_y
      - .offset:         112
        .size:           8
        .value_kind:     hidden_global_offset_z
      - .offset:         120
        .size:           2
        .value_kind:     hidden_grid_dims
      - .offset:         176
        .size:           4
        .value_kind:     hidden_dynamic_lds_size
    .group_segment_fixed_size: 0
    .kernarg_segment_align: 8
    .kernarg_segment_size: 312
    .language:       OpenCL C
    .language_version:
      - 2
      - 0
    .max_flat_workgroup_size: 1024
    .name:           _ZN4vllm27moe_align_block_size_kernelIiEEvPT_PiS3_S3_S3_iim
    .private_segment_fixed_size: 0
    .sgpr_count:     38
    .sgpr_spill_count: 0
    .symbol:         _ZN4vllm27moe_align_block_size_kernelIiEEvPT_PiS3_S3_S3_iim.kd
    .uniform_work_group_size: 1
    .uses_dynamic_stack: false
    .vgpr_count:     16
    .vgpr_spill_count: 0
    .wavefront_size: 64
  - .agpr_count:     0
    .args:
      - .actual_access:  read_only
        .address_space:  global
        .offset:         0
        .size:           8
        .value_kind:     global_buffer
      - .address_space:  global
        .offset:         8
        .size:           8
        .value_kind:     global_buffer
      - .address_space:  global
        .offset:         16
        .size:           8
        .value_kind:     global_buffer
      - .address_space:  global
        .offset:         24
        .size:           8
        .value_kind:     global_buffer
      - .address_space:  global
        .offset:         32
        .size:           8
        .value_kind:     global_buffer
      - .offset:         40
        .size:           4
        .value_kind:     by_value
      - .offset:         44
        .size:           4
        .value_kind:     by_value
      - .offset:         48
        .size:           8
        .value_kind:     by_value
      - .offset:         56
        .size:           4
        .value_kind:     hidden_block_count_x
      - .offset:         60
        .size:           4
        .value_kind:     hidden_block_count_y
      - .offset:         64
        .size:           4
        .value_kind:     hidden_block_count_z
      - .offset:         68
        .size:           2
        .value_kind:     hidden_group_size_x
      - .offset:         70
        .size:           2
        .value_kind:     hidden_group_size_y
      - .offset:         72
        .size:           2
        .value_kind:     hidden_group_size_z
      - .offset:         74
        .size:           2
        .value_kind:     hidden_remainder_x
      - .offset:         76
        .size:           2
        .value_kind:     hidden_remainder_y
      - .offset:         78
        .size:           2
        .value_kind:     hidden_remainder_z
      - .offset:         96
        .size:           8
        .value_kind:     hidden_global_offset_x
      - .offset:         104
        .size:           8
        .value_kind:     hidden_global_offset_y
      - .offset:         112
        .size:           8
        .value_kind:     hidden_global_offset_z
      - .offset:         120
        .size:           2
        .value_kind:     hidden_grid_dims
      - .offset:         176
        .size:           4
        .value_kind:     hidden_dynamic_lds_size
    .group_segment_fixed_size: 0
    .kernarg_segment_align: 8
    .kernarg_segment_size: 312
    .language:       OpenCL C
    .language_version:
      - 2
      - 0
    .max_flat_workgroup_size: 1024
    .name:           _ZN4vllm27moe_align_block_size_kernelIlEEvPT_PiS3_S3_S3_iim
    .private_segment_fixed_size: 0
    .sgpr_count:     38
    .sgpr_spill_count: 0
    .symbol:         _ZN4vllm27moe_align_block_size_kernelIlEEvPT_PiS3_S3_S3_iim.kd
    .uniform_work_group_size: 1
    .uses_dynamic_stack: false
    .vgpr_count:     16
    .vgpr_spill_count: 0
    .wavefront_size: 64
amdhsa.target:   amdgcn-amd-amdhsa--gfx90a
amdhsa.version:
  - 1
  - 2
...

	.end_amdgpu_metadata
